;; amdgpu-corpus repo=ROCm/rocFFT kind=compiled arch=gfx950 opt=O3
	.text
	.amdgcn_target "amdgcn-amd-amdhsa--gfx950"
	.amdhsa_code_object_version 6
	.protected	bluestein_single_fwd_len918_dim1_dp_op_CI_CI ; -- Begin function bluestein_single_fwd_len918_dim1_dp_op_CI_CI
	.globl	bluestein_single_fwd_len918_dim1_dp_op_CI_CI
	.p2align	8
	.type	bluestein_single_fwd_len918_dim1_dp_op_CI_CI,@function
bluestein_single_fwd_len918_dim1_dp_op_CI_CI: ; @bluestein_single_fwd_len918_dim1_dp_op_CI_CI
; %bb.0:
	s_load_dwordx4 s[4:7], s[0:1], 0x28
	v_mul_u32_u24_e32 v1, 0x283, v0
	v_mov_b32_e32 v143, 0
	v_add_u32_sdwa v2, s2, v1 dst_sel:DWORD dst_unused:UNUSED_PAD src0_sel:DWORD src1_sel:WORD_1
	v_mov_b32_e32 v3, v143
	v_accvgpr_write_b32 a2, v2
	s_waitcnt lgkmcnt(0)
	v_cmp_gt_u64_e32 vcc, s[4:5], v[2:3]
	s_and_saveexec_b64 s[2:3], vcc
	s_cbranch_execz .LBB0_23
; %bb.1:
	s_load_dwordx2 s[12:13], s[0:1], 0x0
	s_load_dwordx2 s[14:15], s[0:1], 0x38
	s_movk_i32 s2, 0x66
	v_mul_lo_u16_sdwa v1, v1, s2 dst_sel:DWORD dst_unused:UNUSED_PAD src0_sel:WORD_1 src1_sel:DWORD
	v_sub_u16_e32 v142, v0, v1
	v_cmp_gt_u16_e64 s[4:5], 54, v142
	v_lshlrev_b32_e32 v196, 4, v142
	s_and_saveexec_b64 s[2:3], s[4:5]
	s_cbranch_execz .LBB0_3
; %bb.2:
	s_load_dwordx2 s[8:9], s[0:1], 0x18
	v_accvgpr_read_b32 v10, a2
	v_mov_b32_e32 v0, s6
	v_mov_b32_e32 v1, s7
	;; [unrolled: 1-line block ×3, first 2 shown]
	s_waitcnt lgkmcnt(0)
	s_load_dwordx4 s[8:11], s[8:9], 0x0
	v_mov_b32_e32 v36, 0x360
	v_lshl_add_u64 v[108:109], s[12:13], 0, v[196:197]
	s_waitcnt lgkmcnt(0)
	v_mad_u64_u32 v[2:3], s[6:7], s10, v10, 0
	v_mad_u64_u32 v[4:5], s[6:7], s8, v142, 0
	v_mov_b32_e32 v6, v3
	v_mov_b32_e32 v8, v5
	v_mad_u64_u32 v[6:7], s[6:7], s11, v10, v[6:7]
	v_mov_b32_e32 v3, v6
	v_mad_u64_u32 v[6:7], s[6:7], s9, v142, v[8:9]
	v_mov_b32_e32 v5, v6
	v_lshl_add_u64 v[0:1], v[2:3], 4, v[0:1]
	v_lshl_add_u64 v[24:25], v[4:5], 4, v[0:1]
	s_movk_i32 s6, 0x1000
	v_add_co_u32_e32 v62, vcc, s6, v108
	s_mul_i32 s6, s9, 0x360
	v_mad_u64_u32 v[28:29], s[10:11], s8, v36, v[24:25]
	v_addc_co_u32_e32 v63, vcc, 0, v109, vcc
	v_add_u32_e32 v29, s6, v29
	global_load_dwordx4 v[0:3], v[24:25], off
	global_load_dwordx4 v[4:7], v196, s[12:13]
	global_load_dwordx4 v[8:11], v196, s[12:13] offset:864
	global_load_dwordx4 v[12:15], v196, s[12:13] offset:1728
	;; [unrolled: 1-line block ×4, first 2 shown]
	global_load_dwordx4 v[38:41], v[62:63], off offset:224
	global_load_dwordx4 v[42:45], v[62:63], off offset:1088
	global_load_dwordx4 v[46:49], v[28:29], off
	global_load_dwordx4 v[50:53], v[62:63], off offset:1952
	s_nop 0
	global_load_dwordx4 v[24:27], v[62:63], off offset:2816
	v_mad_u64_u32 v[28:29], s[10:11], s8, v36, v[28:29]
	v_add_u32_e32 v29, s6, v29
	v_mad_u64_u32 v[64:65], s[10:11], s8, v36, v[28:29]
	global_load_dwordx4 v[54:57], v[28:29], off
	v_add_u32_e32 v65, s6, v65
	v_mad_u64_u32 v[66:67], s[10:11], s8, v36, v[64:65]
	s_movk_i32 s7, 0x2000
	v_add_u32_e32 v67, s6, v67
	v_add_co_u32_e32 v122, vcc, s7, v108
	v_mad_u64_u32 v[78:79], s[10:11], s8, v36, v[66:67]
	s_nop 0
	v_addc_co_u32_e32 v123, vcc, 0, v109, vcc
	global_load_dwordx4 v[58:61], v[64:65], off
	global_load_dwordx4 v[32:35], v[62:63], off offset:3680
	global_load_dwordx4 v[28:31], v[122:123], off offset:448
	v_add_u32_e32 v79, s6, v79
	global_load_dwordx4 v[62:65], v[66:67], off
	v_mad_u64_u32 v[82:83], s[10:11], s8, v36, v[78:79]
	v_add_u32_e32 v83, s6, v83
	v_mad_u64_u32 v[86:87], s[10:11], s8, v36, v[82:83]
	global_load_dwordx4 v[66:69], v[78:79], off
	global_load_dwordx4 v[70:73], v[122:123], off offset:1312
	global_load_dwordx4 v[74:77], v[122:123], off offset:2176
	v_add_u32_e32 v87, s6, v87
	global_load_dwordx4 v[78:81], v[82:83], off
	v_mad_u64_u32 v[90:91], s[10:11], s8, v36, v[86:87]
	global_load_dwordx4 v[82:85], v[86:87], off
	v_add_u32_e32 v91, s6, v91
	v_mad_u64_u32 v[94:95], s[10:11], s8, v36, v[90:91]
	global_load_dwordx4 v[86:89], v[90:91], off
	v_add_u32_e32 v95, s6, v95
	;; [unrolled: 3-line block ×7, first 2 shown]
	global_load_dwordx4 v[114:117], v[126:127], off
	global_load_dwordx4 v[118:121], v[122:123], off offset:3040
	s_nop 0
	global_load_dwordx4 v[122:125], v[122:123], off offset:3904
	s_movk_i32 s7, 0x3000
	v_mad_u64_u32 v[134:135], s[10:11], s8, v36, v[126:127]
	v_add_co_u32_e32 v108, vcc, s7, v108
	v_add_u32_e32 v135, s6, v135
	s_nop 0
	v_addc_co_u32_e32 v109, vcc, 0, v109, vcc
	global_load_dwordx4 v[126:129], v[134:135], off
	global_load_dwordx4 v[130:133], v[108:109], off offset:672
	v_mad_u64_u32 v[36:37], s[8:9], s8, v36, v[134:135]
	v_add_u32_e32 v37, s6, v37
	global_load_dwordx4 v[134:137], v[36:37], off
	global_load_dwordx4 v[138:141], v[108:109], off offset:1536
	s_waitcnt vmcnt(32)
	v_mul_f64 v[106:107], v[2:3], v[6:7]
	v_mul_f64 v[6:7], v[0:1], v[6:7]
	v_fmac_f64_e32 v[106:107], v[0:1], v[4:5]
	v_fma_f64 v[108:109], v[2:3], v[4:5], -v[6:7]
	s_waitcnt vmcnt(25)
	v_mul_f64 v[0:1], v[48:49], v[10:11]
	v_mul_f64 v[2:3], v[46:47], v[10:11]
	v_fmac_f64_e32 v[0:1], v[46:47], v[8:9]
	v_fma_f64 v[2:3], v[48:49], v[8:9], -v[2:3]
	ds_write_b128 v196, v[106:109]
	ds_write_b128 v196, v[0:3] offset:864
	s_waitcnt vmcnt(22)
	v_mul_f64 v[0:1], v[56:57], v[14:15]
	v_mul_f64 v[2:3], v[54:55], v[14:15]
	v_fmac_f64_e32 v[0:1], v[54:55], v[12:13]
	v_fma_f64 v[2:3], v[56:57], v[12:13], -v[2:3]
	ds_write_b128 v196, v[0:3] offset:1728
	s_waitcnt vmcnt(21)
	v_mul_f64 v[0:1], v[60:61], v[18:19]
	v_mul_f64 v[2:3], v[58:59], v[18:19]
	v_fmac_f64_e32 v[0:1], v[58:59], v[16:17]
	v_fma_f64 v[2:3], v[60:61], v[16:17], -v[2:3]
	;; [unrolled: 6-line block ×15, first 2 shown]
	ds_write_b128 v196, v[0:3] offset:13824
.LBB0_3:
	s_or_b64 exec, exec, s[2:3]
	s_load_dwordx2 s[2:3], s[0:1], 0x20
	s_load_dwordx2 s[6:7], s[0:1], 0x8
	v_accvgpr_write_b32 a0, v142
	v_accvgpr_write_b32 a1, v143
	s_waitcnt lgkmcnt(0)
	s_barrier
	s_waitcnt lgkmcnt(0)
                                        ; implicit-def: $vgpr28_vgpr29
                                        ; implicit-def: $vgpr32_vgpr33
                                        ; implicit-def: $vgpr36_vgpr37
                                        ; implicit-def: $vgpr40_vgpr41
                                        ; implicit-def: $vgpr44_vgpr45
                                        ; implicit-def: $vgpr48_vgpr49
                                        ; implicit-def: $vgpr52_vgpr53
                                        ; implicit-def: $vgpr56_vgpr57
                                        ; implicit-def: $vgpr60_vgpr61
                                        ; implicit-def: $vgpr64_vgpr65
                                        ; implicit-def: $vgpr68_vgpr69
                                        ; implicit-def: $vgpr72_vgpr73
                                        ; implicit-def: $vgpr76_vgpr77
                                        ; implicit-def: $vgpr80_vgpr81
                                        ; implicit-def: $vgpr88_vgpr89
                                        ; implicit-def: $vgpr92_vgpr93
                                        ; implicit-def: $vgpr96_vgpr97
	s_and_saveexec_b64 s[0:1], s[4:5]
	s_cbranch_execz .LBB0_5
; %bb.4:
	ds_read_b128 v[28:31], v196
	ds_read_b128 v[32:35], v196 offset:864
	ds_read_b128 v[36:39], v196 offset:1728
	ds_read_b128 v[40:43], v196 offset:2592
	ds_read_b128 v[44:47], v196 offset:3456
	ds_read_b128 v[48:51], v196 offset:4320
	ds_read_b128 v[52:55], v196 offset:5184
	ds_read_b128 v[56:59], v196 offset:6048
	ds_read_b128 v[60:63], v196 offset:6912
	ds_read_b128 v[64:67], v196 offset:7776
	ds_read_b128 v[68:71], v196 offset:8640
	ds_read_b128 v[72:75], v196 offset:9504
	ds_read_b128 v[76:79], v196 offset:10368
	ds_read_b128 v[80:83], v196 offset:11232
	ds_read_b128 v[88:91], v196 offset:12096
	ds_read_b128 v[92:95], v196 offset:12960
	ds_read_b128 v[96:99], v196 offset:13824
.LBB0_5:
	s_or_b64 exec, exec, s[0:1]
	s_mov_b32 s26, 0x5d8e7cdc
	s_waitcnt lgkmcnt(0)
	v_add_f64 v[84:85], v[34:35], -v[98:99]
	s_mov_b32 s27, 0xbfd71e95
	s_mov_b32 s28, 0x2a9d6da3
	;; [unrolled: 1-line block ×3, first 2 shown]
	v_mul_f64 v[0:1], v[84:85], s[26:27]
	s_mov_b32 s29, 0xbfe58eea
	v_add_f64 v[86:87], v[38:39], -v[94:95]
	v_add_f64 v[128:129], v[32:33], v[96:97]
	s_mov_b32 s1, 0x3fedd6d0
	v_accvgpr_write_b32 a33, v1
	s_mov_b32 s8, 0x75d4884
	v_mul_f64 v[2:3], v[86:87], s[28:29]
	v_accvgpr_write_b32 a32, v0
	v_fma_f64 v[0:1], s[0:1], v[128:129], v[0:1]
	s_mov_b32 s9, 0x3fe7a5f6
	v_add_f64 v[138:139], v[36:37], v[92:93]
	v_accvgpr_write_b32 a35, v3
	v_add_f64 v[0:1], v[28:29], v[0:1]
	v_accvgpr_write_b32 a34, v2
	v_fma_f64 v[2:3], s[8:9], v[138:139], v[2:3]
	v_add_f64 v[100:101], v[32:33], -v[96:97]
	v_add_f64 v[0:1], v[2:3], v[0:1]
	v_mul_f64 v[2:3], v[100:101], s[26:27]
	v_add_f64 v[102:103], v[36:37], -v[92:93]
	v_add_f64 v[142:143], v[34:35], v[98:99]
	v_accvgpr_write_b32 a37, v3
	v_mul_f64 v[4:5], v[102:103], s[28:29]
	v_accvgpr_write_b32 a36, v2
	v_fma_f64 v[2:3], v[142:143], s[0:1], -v[2:3]
	v_add_f64 v[140:141], v[38:39], v[94:95]
	v_accvgpr_write_b32 a39, v5
	s_mov_b32 s36, 0x7c9e640b
	v_add_f64 v[2:3], v[30:31], v[2:3]
	v_accvgpr_write_b32 a38, v4
	v_fma_f64 v[4:5], v[140:141], s[8:9], -v[4:5]
	s_mov_b32 s37, 0xbfeca52d
	v_add_f64 v[104:105], v[42:43], -v[90:91]
	v_add_f64 v[2:3], v[4:5], v[2:3]
	s_mov_b32 s10, 0x2b2883cd
	v_mul_f64 v[4:5], v[104:105], s[36:37]
	s_mov_b32 s11, 0x3fdc86fa
	v_add_f64 v[146:147], v[40:41], v[88:89]
	v_accvgpr_write_b32 a41, v5
	v_accvgpr_write_b32 a40, v4
	v_fma_f64 v[4:5], s[10:11], v[146:147], v[4:5]
	v_add_f64 v[106:107], v[40:41], -v[88:89]
	v_add_f64 v[0:1], v[4:5], v[0:1]
	v_mul_f64 v[4:5], v[106:107], s[36:37]
	v_add_f64 v[148:149], v[42:43], v[90:91]
	v_accvgpr_write_b32 a43, v5
	s_mov_b32 s34, 0xeb564b22
	v_accvgpr_write_b32 a42, v4
	v_fma_f64 v[4:5], v[148:149], s[10:11], -v[4:5]
	s_mov_b32 s35, 0xbfefdd0d
	v_add_f64 v[108:109], v[46:47], -v[82:83]
	v_add_f64 v[2:3], v[4:5], v[2:3]
	s_mov_b32 s16, 0x3259b75e
	v_mul_f64 v[4:5], v[108:109], s[34:35]
	s_mov_b32 s17, 0x3fb79ee6
	v_add_f64 v[154:155], v[44:45], v[80:81]
	v_accvgpr_write_b32 a45, v5
	v_accvgpr_write_b32 a44, v4
	v_fma_f64 v[4:5], s[16:17], v[154:155], v[4:5]
	v_add_f64 v[110:111], v[44:45], -v[80:81]
	v_add_f64 v[0:1], v[4:5], v[0:1]
	v_mul_f64 v[4:5], v[110:111], s[34:35]
	v_add_f64 v[156:157], v[46:47], v[82:83]
	v_accvgpr_write_b32 a47, v5
	s_mov_b32 s30, 0x923c349f
	;; [unrolled: 18-line block ×5, first 2 shown]
	v_accvgpr_write_b32 a58, v4
	v_fma_f64 v[4:5], v[178:179], s[22:23], -v[4:5]
	s_mov_b32 s43, 0xbfc7851a
	v_add_f64 v[242:243], v[62:63], -v[66:67]
	v_add_f64 v[2:3], v[4:5], v[2:3]
	s_mov_b32 s24, 0x7faef3
	v_mul_f64 v[4:5], v[242:243], s[42:43]
	s_mov_b32 s25, 0xbfef7484
	v_add_f64 v[190:191], v[60:61], v[64:65]
	v_accvgpr_write_b32 a61, v5
	v_accvgpr_write_b32 a60, v4
	v_fma_f64 v[4:5], s[24:25], v[190:191], v[4:5]
	v_add_f64 v[246:247], v[60:61], -v[64:65]
	v_add_f64 v[4:5], v[4:5], v[0:1]
	v_mul_f64 v[0:1], v[246:247], s[42:43]
	v_add_f64 v[202:203], v[62:63], v[66:67]
	v_accvgpr_write_b32 a63, v1
	v_accvgpr_write_b32 a62, v0
	v_fma_f64 v[0:1], v[202:203], s[24:25], -v[0:1]
	v_add_f64 v[6:7], v[0:1], v[2:3]
	v_mul_f64 v[0:1], v[84:85], s[28:29]
	v_accvgpr_write_b32 a65, v1
	v_mul_f64 v[2:3], v[86:87], s[34:35]
	v_accvgpr_write_b32 a64, v0
	v_fma_f64 v[0:1], s[8:9], v[128:129], v[0:1]
	v_accvgpr_write_b32 a67, v3
	v_add_f64 v[0:1], v[28:29], v[0:1]
	v_accvgpr_write_b32 a66, v2
	v_fma_f64 v[2:3], s[16:17], v[138:139], v[2:3]
	v_accvgpr_write_b32 a4, v4
	v_add_f64 v[0:1], v[2:3], v[0:1]
	v_mul_f64 v[2:3], v[100:101], s[28:29]
	v_accvgpr_write_b32 a5, v5
	v_accvgpr_write_b32 a6, v6
	;; [unrolled: 1-line block ×4, first 2 shown]
	v_mul_f64 v[4:5], v[102:103], s[34:35]
	v_accvgpr_write_b32 a72, v2
	v_fma_f64 v[2:3], v[142:143], s[8:9], -v[2:3]
	v_accvgpr_write_b32 a75, v5
	v_add_f64 v[2:3], v[30:31], v[2:3]
	v_accvgpr_write_b32 a74, v4
	v_fma_f64 v[4:5], v[140:141], s[16:17], -v[4:5]
	v_add_f64 v[2:3], v[4:5], v[2:3]
	v_mul_f64 v[4:5], v[104:105], s[38:39]
	v_accvgpr_write_b32 a69, v5
	v_accvgpr_write_b32 a68, v4
	v_fma_f64 v[4:5], s[20:21], v[146:147], v[4:5]
	v_add_f64 v[0:1], v[4:5], v[0:1]
	v_mul_f64 v[4:5], v[106:107], s[38:39]
	v_accvgpr_write_b32 a79, v5
	v_accvgpr_write_b32 a78, v4
	v_fma_f64 v[4:5], v[148:149], s[20:21], -v[4:5]
	v_add_f64 v[2:3], v[4:5], v[2:3]
	v_mul_f64 v[4:5], v[108:109], s[42:43]
	v_accvgpr_write_b32 a71, v5
	v_accvgpr_write_b32 a70, v4
	v_fma_f64 v[4:5], s[24:25], v[154:155], v[4:5]
	v_add_f64 v[0:1], v[4:5], v[0:1]
	v_mul_f64 v[4:5], v[110:111], s[42:43]
	v_accvgpr_write_b32 a83, v5
	v_accvgpr_write_b32 a82, v4
	v_fma_f64 v[4:5], v[156:157], s[24:25], -v[4:5]
	s_mov_b32 s53, 0x3fe0d888
	s_mov_b32 s52, s40
	v_add_f64 v[2:3], v[4:5], v[2:3]
	v_mul_f64 v[4:5], v[164:165], s[52:53]
	v_accvgpr_write_b32 a77, v5
	v_accvgpr_write_b32 a76, v4
	v_fma_f64 v[4:5], s[22:23], v[160:161], v[4:5]
	v_add_f64 v[0:1], v[4:5], v[0:1]
	v_mul_f64 v[4:5], v[166:167], s[52:53]
	v_accvgpr_write_b32 a87, v5
	v_accvgpr_write_b32 a86, v4
	v_fma_f64 v[4:5], v[162:163], s[22:23], -v[4:5]
	s_mov_b32 s51, 0x3feec746
	s_mov_b32 s50, s30
	;; [unrolled: 12-line block ×4, first 2 shown]
	v_add_f64 v[2:3], v[4:5], v[2:3]
	v_mul_f64 v[4:5], v[242:243], s[46:47]
	v_accvgpr_write_b32 a89, v5
	v_accvgpr_write_b32 a88, v4
	v_fma_f64 v[4:5], s[0:1], v[190:191], v[4:5]
	v_add_f64 v[4:5], v[4:5], v[0:1]
	v_mul_f64 v[0:1], v[246:247], s[46:47]
	v_accvgpr_write_b32 a95, v1
	v_accvgpr_write_b32 a94, v0
	v_fma_f64 v[0:1], v[202:203], s[0:1], -v[0:1]
	v_add_f64 v[6:7], v[0:1], v[2:3]
	v_mul_f64 v[0:1], v[84:85], s[36:37]
	v_accvgpr_write_b32 a97, v1
	v_mul_f64 v[2:3], v[86:87], s[38:39]
	v_accvgpr_write_b32 a96, v0
	v_fma_f64 v[0:1], s[10:11], v[128:129], v[0:1]
	v_accvgpr_write_b32 a99, v3
	v_add_f64 v[0:1], v[28:29], v[0:1]
	v_accvgpr_write_b32 a98, v2
	v_fma_f64 v[2:3], s[20:21], v[138:139], v[2:3]
	v_accvgpr_write_b32 a11, v7
	v_add_f64 v[0:1], v[2:3], v[0:1]
	v_mul_f64 v[2:3], v[100:101], s[36:37]
	v_accvgpr_write_b32 a10, v6
	v_accvgpr_write_b32 a9, v5
	;; [unrolled: 1-line block ×4, first 2 shown]
	v_mul_f64 v[4:5], v[102:103], s[38:39]
	v_accvgpr_write_b32 a110, v2
	v_fma_f64 v[2:3], v[142:143], s[10:11], -v[2:3]
	v_accvgpr_write_b32 a115, v5
	v_add_f64 v[2:3], v[30:31], v[2:3]
	v_accvgpr_write_b32 a114, v4
	v_fma_f64 v[4:5], v[140:141], s[20:21], -v[4:5]
	s_mov_b32 s49, 0x3fc7851a
	s_mov_b32 s48, s42
	v_add_f64 v[2:3], v[4:5], v[2:3]
	v_mul_f64 v[4:5], v[104:105], s[48:49]
	v_accvgpr_write_b32 a101, v5
	v_accvgpr_write_b32 a100, v4
	v_fma_f64 v[4:5], s[24:25], v[146:147], v[4:5]
	v_add_f64 v[0:1], v[4:5], v[0:1]
	v_mul_f64 v[4:5], v[106:107], s[48:49]
	v_accvgpr_write_b32 a117, v5
	v_accvgpr_write_b32 a116, v4
	v_fma_f64 v[4:5], v[148:149], s[24:25], -v[4:5]
	v_add_f64 v[2:3], v[4:5], v[2:3]
	v_mul_f64 v[4:5], v[108:109], s[50:51]
	v_accvgpr_write_b32 a103, v5
	v_accvgpr_write_b32 a102, v4
	v_fma_f64 v[4:5], s[18:19], v[154:155], v[4:5]
	v_add_f64 v[0:1], v[4:5], v[0:1]
	v_mul_f64 v[4:5], v[110:111], s[50:51]
	v_accvgpr_write_b32 a119, v5
	v_accvgpr_write_b32 a118, v4
	v_fma_f64 v[4:5], v[156:157], s[18:19], -v[4:5]
	s_mov_b32 s49, 0x3fe58eea
	s_mov_b32 s48, s28
	v_add_f64 v[2:3], v[4:5], v[2:3]
	v_mul_f64 v[4:5], v[164:165], s[48:49]
	v_accvgpr_write_b32 a105, v5
	v_accvgpr_write_b32 a104, v4
	v_fma_f64 v[4:5], s[8:9], v[160:161], v[4:5]
	v_add_f64 v[0:1], v[4:5], v[0:1]
	v_mul_f64 v[4:5], v[166:167], s[48:49]
	v_accvgpr_write_b32 a121, v5
	v_accvgpr_write_b32 a120, v4
	v_fma_f64 v[4:5], v[162:163], s[8:9], -v[4:5]
	v_add_f64 v[2:3], v[4:5], v[2:3]
	v_mul_f64 v[4:5], v[206:207], s[26:27]
	v_accvgpr_write_b32 a107, v5
	v_accvgpr_write_b32 a106, v4
	v_fma_f64 v[4:5], s[0:1], v[168:169], v[4:5]
	v_add_f64 v[0:1], v[4:5], v[0:1]
	v_mul_f64 v[4:5], v[210:211], s[26:27]
	v_accvgpr_write_b32 a123, v5
	v_accvgpr_write_b32 a122, v4
	v_fma_f64 v[4:5], v[170:171], s[0:1], -v[4:5]
	;; [unrolled: 10-line block ×4, first 2 shown]
	v_add_f64 v[6:7], v[0:1], v[2:3]
	v_mul_f64 v[0:1], v[84:85], s[34:35]
	v_accvgpr_write_b32 a129, v1
	v_mul_f64 v[2:3], v[86:87], s[42:43]
	v_accvgpr_write_b32 a128, v0
	v_fma_f64 v[0:1], s[16:17], v[128:129], v[0:1]
	v_accvgpr_write_b32 a131, v3
	v_add_f64 v[0:1], v[28:29], v[0:1]
	v_accvgpr_write_b32 a130, v2
	v_fma_f64 v[2:3], s[24:25], v[138:139], v[2:3]
	v_accvgpr_write_b32 a15, v7
	v_add_f64 v[0:1], v[2:3], v[0:1]
	v_mul_f64 v[2:3], v[100:101], s[34:35]
	v_accvgpr_write_b32 a14, v6
	v_accvgpr_write_b32 a13, v5
	;; [unrolled: 1-line block ×4, first 2 shown]
	v_mul_f64 v[4:5], v[102:103], s[42:43]
	v_accvgpr_write_b32 a136, v2
	v_fma_f64 v[2:3], v[142:143], s[16:17], -v[2:3]
	v_accvgpr_write_b32 a141, v5
	v_add_f64 v[2:3], v[30:31], v[2:3]
	v_accvgpr_write_b32 a140, v4
	v_fma_f64 v[4:5], v[140:141], s[24:25], -v[4:5]
	v_add_f64 v[2:3], v[4:5], v[2:3]
	v_mul_f64 v[4:5], v[104:105], s[50:51]
	v_accvgpr_write_b32 a133, v5
	v_accvgpr_write_b32 a132, v4
	v_fma_f64 v[4:5], s[18:19], v[146:147], v[4:5]
	v_mul_f64 v[126:127], v[106:107], s[50:51]
	v_add_f64 v[0:1], v[4:5], v[0:1]
	v_fma_f64 v[4:5], v[148:149], s[18:19], -v[126:127]
	v_add_f64 v[2:3], v[4:5], v[2:3]
	v_mul_f64 v[4:5], v[108:109], s[46:47]
	v_accvgpr_write_b32 a135, v5
	v_accvgpr_write_b32 a134, v4
	v_fma_f64 v[4:5], s[0:1], v[154:155], v[4:5]
	v_mul_f64 v[132:133], v[110:111], s[46:47]
	v_add_f64 v[0:1], v[4:5], v[0:1]
	;; [unrolled: 8-line block ×3, first 2 shown]
	v_fma_f64 v[4:5], v[162:163], s[10:11], -v[136:137]
	v_add_f64 v[2:3], v[4:5], v[2:3]
	v_mul_f64 v[4:5], v[206:207], s[40:41]
	v_accvgpr_write_b32 a143, v5
	v_accvgpr_write_b32 a142, v4
	v_fma_f64 v[4:5], s[22:23], v[168:169], v[4:5]
	v_mul_f64 v[144:145], v[210:211], s[40:41]
	s_mov_b32 s55, 0x3fe9895b
	s_mov_b32 s54, s38
	v_add_f64 v[0:1], v[4:5], v[0:1]
	v_fma_f64 v[4:5], v[170:171], s[22:23], -v[144:145]
	v_mul_f64 v[130:131], v[222:223], s[54:55]
	v_add_f64 v[2:3], v[4:5], v[2:3]
	v_fma_f64 v[4:5], s[20:21], v[174:175], v[130:131]
	v_mul_f64 v[150:151], v[224:225], s[54:55]
	v_add_f64 v[0:1], v[4:5], v[0:1]
	v_fma_f64 v[4:5], v[178:179], s[20:21], -v[150:151]
	v_mul_f64 v[134:135], v[242:243], s[48:49]
	v_add_f64 v[2:3], v[4:5], v[2:3]
	v_fma_f64 v[4:5], s[8:9], v[190:191], v[134:135]
	v_mul_f64 v[152:153], v[246:247], s[48:49]
	;; [unrolled: 6-line block ×3, first 2 shown]
	v_add_f64 v[0:1], v[28:29], v[0:1]
	v_fma_f64 v[2:3], s[22:23], v[138:139], v[114:115]
	v_mul_f64 v[176:177], v[100:101], s[30:31]
	v_accvgpr_write_b32 a19, v7
	v_add_f64 v[0:1], v[2:3], v[0:1]
	v_fma_f64 v[2:3], v[142:143], s[18:19], -v[176:177]
	v_mul_f64 v[182:183], v[102:103], s[52:53]
	v_accvgpr_write_b32 a18, v6
	v_accvgpr_write_b32 a17, v5
	v_accvgpr_write_b32 a16, v4
	v_add_f64 v[2:3], v[30:31], v[2:3]
	v_fma_f64 v[4:5], v[140:141], s[22:23], -v[182:183]
	v_mul_f64 v[158:159], v[104:105], s[48:49]
	v_add_f64 v[2:3], v[4:5], v[2:3]
	v_fma_f64 v[4:5], s[8:9], v[146:147], v[158:159]
	v_mul_f64 v[186:187], v[106:107], s[48:49]
	v_add_f64 v[0:1], v[4:5], v[0:1]
	v_fma_f64 v[4:5], v[148:149], s[8:9], -v[186:187]
	v_mul_f64 v[172:173], v[108:109], s[36:37]
	v_add_f64 v[2:3], v[4:5], v[2:3]
	v_fma_f64 v[4:5], s[10:11], v[154:155], v[172:173]
	v_mul_f64 v[192:193], v[110:111], s[36:37]
	;; [unrolled: 6-line block ×3, first 2 shown]
	s_mov_b32 s37, 0x3fefdd0d
	s_mov_b32 s36, s34
	v_add_f64 v[0:1], v[4:5], v[0:1]
	v_fma_f64 v[4:5], v[162:163], s[24:25], -v[204:205]
	v_mul_f64 v[184:185], v[206:207], s[36:37]
	v_add_f64 v[2:3], v[4:5], v[2:3]
	v_fma_f64 v[4:5], s[16:17], v[168:169], v[184:185]
	v_mul_f64 v[208:209], v[210:211], s[36:37]
	v_add_f64 v[0:1], v[4:5], v[0:1]
	v_fma_f64 v[4:5], v[170:171], s[16:17], -v[208:209]
	v_mul_f64 v[188:189], v[222:223], s[26:27]
	v_add_f64 v[2:3], v[4:5], v[2:3]
	v_fma_f64 v[4:5], s[0:1], v[174:175], v[188:189]
	v_mul_f64 v[212:213], v[224:225], s[26:27]
	;; [unrolled: 6-line block ×4, first 2 shown]
	v_add_f64 v[0:1], v[28:29], v[0:1]
	v_fma_f64 v[2:3], s[18:19], v[138:139], v[218:219]
	v_mul_f64 v[228:229], v[100:101], s[38:39]
	v_accvgpr_write_b32 a23, v7
	v_add_f64 v[0:1], v[2:3], v[0:1]
	v_fma_f64 v[2:3], v[142:143], s[20:21], -v[228:229]
	v_mul_f64 v[232:233], v[102:103], s[50:51]
	v_accvgpr_write_b32 a22, v6
	v_accvgpr_write_b32 a21, v5
	;; [unrolled: 1-line block ×3, first 2 shown]
	v_add_f64 v[2:3], v[30:31], v[2:3]
	v_fma_f64 v[4:5], v[140:141], s[18:19], -v[232:233]
	v_mul_f64 v[220:221], v[104:105], s[26:27]
	v_add_f64 v[2:3], v[4:5], v[2:3]
	v_fma_f64 v[4:5], s[0:1], v[146:147], v[220:221]
	v_mul_f64 v[236:237], v[106:107], s[26:27]
	v_add_f64 v[0:1], v[4:5], v[0:1]
	v_fma_f64 v[4:5], v[148:149], s[0:1], -v[236:237]
	v_mul_f64 v[226:227], v[108:109], s[40:41]
	v_add_f64 v[2:3], v[4:5], v[2:3]
	v_fma_f64 v[4:5], s[22:23], v[154:155], v[226:227]
	v_mul_f64 v[240:241], v[110:111], s[40:41]
	;; [unrolled: 6-line block ×6, first 2 shown]
	v_add_f64 v[4:5], v[4:5], v[0:1]
	v_fma_f64 v[0:1], v[202:203], s[10:11], -v[116:117]
	v_add_f64 v[6:7], v[0:1], v[2:3]
	v_mul_f64 v[0:1], v[84:85], s[40:41]
	v_accvgpr_write_b32 a27, v7
	v_fma_f64 v[2:3], s[22:23], v[128:129], v[0:1]
	v_accvgpr_write_b32 a26, v6
	v_accvgpr_write_b32 a25, v5
	;; [unrolled: 1-line block ×3, first 2 shown]
	v_add_f64 v[4:5], v[28:29], v[2:3]
	v_mul_f64 v[2:3], v[86:87], s[44:45]
	v_fma_f64 v[6:7], s[10:11], v[138:139], v[2:3]
	v_add_f64 v[4:5], v[6:7], v[4:5]
	v_mul_f64 v[6:7], v[100:101], s[40:41]
	v_fma_f64 v[8:9], v[142:143], s[22:23], -v[6:7]
	v_mul_f64 v[10:11], v[102:103], s[44:45]
	v_add_f64 v[8:9], v[30:31], v[8:9]
	v_fma_f64 v[12:13], v[140:141], s[10:11], -v[10:11]
	v_mul_f64 v[118:119], v[104:105], s[34:35]
	v_add_f64 v[8:9], v[12:13], v[8:9]
	v_fma_f64 v[12:13], s[16:17], v[146:147], v[118:119]
	v_add_f64 v[14:15], v[12:13], v[4:5]
	v_mul_f64 v[12:13], v[106:107], s[34:35]
	v_fma_f64 v[4:5], v[148:149], s[16:17], -v[12:13]
	v_add_f64 v[8:9], v[4:5], v[8:9]
	v_mul_f64 v[4:5], v[108:109], s[54:55]
	v_fma_f64 v[16:17], s[20:21], v[154:155], v[4:5]
	v_mul_f64 v[252:253], v[110:111], s[54:55]
	v_add_f64 v[14:15], v[16:17], v[14:15]
	v_fma_f64 v[16:17], v[156:157], s[20:21], -v[252:253]
	v_add_f64 v[16:17], v[16:17], v[8:9]
	v_mul_f64 v[8:9], v[164:165], s[26:27]
	v_fma_f64 v[18:19], s[0:1], v[160:161], v[8:9]
	v_add_f64 v[14:15], v[18:19], v[14:15]
	v_mul_f64 v[18:19], v[166:167], s[26:27]
	v_fma_f64 v[20:21], v[162:163], s[0:1], -v[18:19]
	v_mul_f64 v[250:251], v[206:207], s[42:43]
	v_add_f64 v[16:17], v[20:21], v[16:17]
	v_fma_f64 v[20:21], s[24:25], v[168:169], v[250:251]
	v_add_f64 v[22:23], v[20:21], v[14:15]
	v_mul_f64 v[20:21], v[210:211], s[42:43]
	v_fma_f64 v[14:15], v[170:171], s[24:25], -v[20:21]
	v_add_f64 v[16:17], v[14:15], v[16:17]
	v_mul_f64 v[14:15], v[222:223], s[48:49]
	v_fma_f64 v[24:25], s[8:9], v[174:175], v[14:15]
	v_add_f64 v[24:25], v[24:25], v[22:23]
	v_mul_f64 v[22:23], v[224:225], s[48:49]
	v_fma_f64 v[26:27], v[178:179], s[8:9], -v[22:23]
	v_add_f64 v[26:27], v[26:27], v[16:17]
	v_mul_f64 v[16:17], v[242:243], s[30:31]
	v_fma_f64 v[120:121], s[18:19], v[190:191], v[16:17]
	v_add_f64 v[122:123], v[120:121], v[24:25]
	v_mul_f64 v[120:121], v[246:247], s[30:31]
	v_fma_f64 v[24:25], v[202:203], s[18:19], -v[120:121]
	v_add_f64 v[124:125], v[24:25], v[26:27]
	v_accvgpr_write_b32 a28, v122
	v_mul_f64 v[254:255], v[84:85], s[42:43]
	v_accvgpr_write_b32 a29, v123
	v_accvgpr_write_b32 a30, v124
	;; [unrolled: 1-line block ×3, first 2 shown]
	v_fma_f64 v[24:25], s[24:25], v[128:129], v[254:255]
	v_mul_f64 v[122:123], v[86:87], s[46:47]
	v_add_f64 v[24:25], v[28:29], v[24:25]
	v_fma_f64 v[26:27], s[0:1], v[138:139], v[122:123]
	v_add_f64 v[26:27], v[26:27], v[24:25]
	v_mul_f64 v[24:25], v[100:101], s[42:43]
	v_fma_f64 v[84:85], v[142:143], s[24:25], -v[24:25]
	v_mul_f64 v[124:125], v[102:103], s[46:47]
	v_add_f64 v[84:85], v[30:31], v[84:85]
	v_fma_f64 v[86:87], v[140:141], s[0:1], -v[124:125]
	v_mul_f64 v[100:101], v[104:105], s[40:41]
	v_add_f64 v[84:85], v[86:87], v[84:85]
	v_fma_f64 v[86:87], s[22:23], v[146:147], v[100:101]
	v_mul_f64 v[106:107], v[106:107], s[40:41]
	v_add_f64 v[26:27], v[86:87], v[26:27]
	v_fma_f64 v[86:87], v[148:149], s[22:23], -v[106:107]
	v_mul_f64 v[102:103], v[108:109], s[48:49]
	v_add_f64 v[84:85], v[86:87], v[84:85]
	v_fma_f64 v[86:87], s[8:9], v[154:155], v[102:103]
	v_mul_f64 v[110:111], v[110:111], s[48:49]
	v_add_f64 v[86:87], v[86:87], v[26:27]
	v_fma_f64 v[26:27], v[156:157], s[8:9], -v[110:111]
	v_add_f64 v[84:85], v[26:27], v[84:85]
	v_mul_f64 v[26:27], v[164:165], s[38:39]
	v_fma_f64 v[104:105], s[20:21], v[160:161], v[26:27]
	v_mul_f64 v[166:167], v[166:167], s[38:39]
	v_add_f64 v[86:87], v[104:105], v[86:87]
	v_fma_f64 v[104:105], v[162:163], s[20:21], -v[166:167]
	v_add_f64 v[84:85], v[104:105], v[84:85]
	v_mul_f64 v[104:105], v[206:207], s[44:45]
	;; [unrolled: 6-line block ×4, first 2 shown]
	v_mul_f64 v[222:223], v[246:247], s[36:37]
	v_fma_f64 v[84:85], s[16:17], v[190:191], v[164:165]
	v_add_f64 v[84:85], v[84:85], v[86:87]
	v_fma_f64 v[86:87], v[202:203], s[16:17], -v[222:223]
	v_add_f64 v[86:87], v[86:87], v[224:225]
	v_accvgpr_read_b32 v225, a1
	v_accvgpr_read_b32 v224, a0
	v_mul_lo_u16_e32 v197, 17, v224
	v_accvgpr_write_b32 a3, v197
	s_barrier
	s_and_saveexec_b64 s[26:27], s[4:5]
	s_cbranch_execz .LBB0_7
; %bb.6:
	v_mul_f64 v[224:225], v[202:203], s[16:17]
	v_add_f64 v[222:223], v[222:223], v[224:225]
	v_mul_f64 v[224:225], v[178:179], s[18:19]
	v_add_f64 v[210:211], v[210:211], v[224:225]
	;; [unrolled: 2-line block ×8, first 2 shown]
	v_add_f64 v[24:25], v[30:31], v[24:25]
	v_add_f64 v[24:25], v[124:125], v[24:25]
	;; [unrolled: 1-line block ×4, first 2 shown]
	v_mul_f64 v[110:111], v[174:175], s[18:19]
	v_add_f64 v[108:109], v[110:111], -v[108:109]
	v_mul_f64 v[110:111], v[168:169], s[10:11]
	v_add_f64 v[104:105], v[110:111], -v[104:105]
	v_mul_f64 v[110:111], v[160:161], s[20:21]
	v_add_f64 v[26:27], v[110:111], -v[26:27]
	v_mul_f64 v[110:111], v[154:155], s[8:9]
	v_add_f64 v[102:103], v[110:111], -v[102:103]
	v_mul_f64 v[110:111], v[146:147], s[22:23]
	v_add_f64 v[100:101], v[110:111], -v[100:101]
	v_mul_f64 v[110:111], v[138:139], s[0:1]
	v_add_f64 v[110:111], v[110:111], -v[122:123]
	v_mul_f64 v[122:123], v[128:129], s[24:25]
	v_add_f64 v[122:123], v[122:123], -v[254:255]
	v_add_f64 v[122:123], v[28:29], v[122:123]
	v_add_f64 v[110:111], v[110:111], v[122:123]
	;; [unrolled: 1-line block ×5, first 2 shown]
	v_mul_f64 v[106:107], v[190:191], s[16:17]
	v_add_f64 v[26:27], v[104:105], v[26:27]
	v_mul_f64 v[104:105], v[148:149], s[16:17]
	v_add_f64 v[106:107], v[106:107], -v[164:165]
	v_add_f64 v[26:27], v[108:109], v[26:27]
	v_add_f64 v[12:13], v[12:13], v[104:105]
	v_mul_f64 v[104:105], v[140:141], s[10:11]
	v_add_f64 v[100:101], v[106:107], v[26:27]
	v_mul_f64 v[26:27], v[178:179], s[8:9]
	;; [unrolled: 2-line block ×4, first 2 shown]
	v_add_f64 v[6:7], v[6:7], v[104:105]
	v_add_f64 v[20:21], v[20:21], v[26:27]
	v_mul_f64 v[26:27], v[162:163], s[0:1]
	v_add_f64 v[6:7], v[30:31], v[6:7]
	v_add_f64 v[18:19], v[18:19], v[26:27]
	v_mul_f64 v[26:27], v[156:157], s[20:21]
	v_add_f64 v[6:7], v[10:11], v[6:7]
	v_add_f64 v[26:27], v[252:253], v[26:27]
	;; [unrolled: 1-line block ×5, first 2 shown]
	v_mul_f64 v[10:11], v[190:191], s[18:19]
	v_mul_f64 v[18:19], v[138:139], s[10:11]
	v_add_f64 v[10:11], v[10:11], -v[16:17]
	v_mul_f64 v[16:17], v[160:161], s[0:1]
	v_add_f64 v[2:3], v[18:19], -v[2:3]
	;; [unrolled: 2-line block ×4, first 2 shown]
	v_add_f64 v[4:5], v[16:17], -v[4:5]
	v_mul_f64 v[16:17], v[146:147], s[16:17]
	v_add_f64 v[0:1], v[28:29], v[0:1]
	v_add_f64 v[16:17], v[16:17], -v[118:119]
	v_add_f64 v[0:1], v[2:3], v[0:1]
	v_mul_f64 v[12:13], v[174:175], s[8:9]
	v_add_f64 v[0:1], v[16:17], v[0:1]
	v_add_f64 v[12:13], v[12:13], -v[14:15]
	v_mul_f64 v[14:15], v[168:169], s[24:25]
	v_add_f64 v[0:1], v[4:5], v[0:1]
	v_add_f64 v[24:25], v[166:167], v[24:25]
	v_add_f64 v[14:15], v[14:15], -v[250:251]
	v_add_f64 v[0:1], v[8:9], v[0:1]
	v_add_f64 v[24:25], v[206:207], v[24:25]
	;; [unrolled: 1-line block ×3, first 2 shown]
	v_mul_f64 v[14:15], v[142:143], s[20:21]
	v_add_f64 v[24:25], v[210:211], v[24:25]
	v_add_f64 v[0:1], v[12:13], v[0:1]
	v_mul_f64 v[12:13], v[140:141], s[18:19]
	v_add_f64 v[14:15], v[228:229], v[14:15]
	v_mul_f64 v[18:19], v[128:129], s[20:21]
	;; [unrolled: 2-line block ×3, first 2 shown]
	v_add_f64 v[6:7], v[20:21], v[6:7]
	v_add_f64 v[104:105], v[10:11], v[0:1]
	v_mul_f64 v[10:11], v[148:149], s[0:1]
	v_add_f64 v[12:13], v[232:233], v[12:13]
	v_add_f64 v[14:15], v[30:31], v[14:15]
	v_mul_f64 v[16:17], v[138:139], s[18:19]
	v_add_f64 v[18:19], v[18:19], -v[216:217]
	v_add_f64 v[24:25], v[120:121], v[24:25]
	v_add_f64 v[6:7], v[22:23], v[6:7]
	v_mul_f64 v[8:9], v[156:157], s[22:23]
	v_add_f64 v[10:11], v[236:237], v[10:11]
	v_add_f64 v[12:13], v[12:13], v[14:15]
	v_mul_f64 v[14:15], v[146:147], s[0:1]
	v_add_f64 v[16:17], v[16:17], -v[218:219]
	;; [unrolled: 7-line block ×3, first 2 shown]
	v_add_f64 v[16:17], v[16:17], v[18:19]
	v_mul_f64 v[4:5], v[170:171], s[8:9]
	v_add_f64 v[6:7], v[200:201], v[6:7]
	v_add_f64 v[8:9], v[8:9], v[10:11]
	v_mul_f64 v[10:11], v[160:161], s[16:17]
	v_add_f64 v[12:13], v[12:13], -v[226:227]
	v_add_f64 v[14:15], v[14:15], v[16:17]
	v_add_f64 v[4:5], v[244:245], v[4:5]
	v_add_f64 v[6:7], v[6:7], v[8:9]
	v_mul_f64 v[8:9], v[168:169], s[8:9]
	v_add_f64 v[10:11], v[10:11], -v[230:231]
	v_add_f64 v[12:13], v[12:13], v[14:15]
	v_mul_f64 v[14:15], v[142:143], s[18:19]
	v_add_f64 v[4:5], v[4:5], v[6:7]
	v_mul_f64 v[6:7], v[174:175], s[24:25]
	v_add_f64 v[8:9], v[8:9], -v[234:235]
	v_add_f64 v[10:11], v[10:11], v[12:13]
	v_mul_f64 v[12:13], v[140:141], s[22:23]
	v_add_f64 v[14:15], v[176:177], v[14:15]
	v_mul_f64 v[18:19], v[128:129], s[18:19]
	v_mul_f64 v[2:3], v[178:179], s[24:25]
	v_add_f64 v[6:7], v[6:7], -v[238:239]
	v_add_f64 v[8:9], v[8:9], v[10:11]
	v_mul_f64 v[10:11], v[148:149], s[8:9]
	v_add_f64 v[12:13], v[182:183], v[12:13]
	v_add_f64 v[14:15], v[30:31], v[14:15]
	v_mul_f64 v[16:17], v[138:139], s[22:23]
	v_add_f64 v[18:19], v[18:19], -v[112:113]
	v_add_f64 v[2:3], v[248:249], v[2:3]
	v_add_f64 v[6:7], v[6:7], v[8:9]
	v_mul_f64 v[8:9], v[156:157], s[10:11]
	v_add_f64 v[10:11], v[186:187], v[10:11]
	v_add_f64 v[12:13], v[12:13], v[14:15]
	v_mul_f64 v[14:15], v[146:147], s[8:9]
	v_add_f64 v[16:17], v[16:17], -v[114:115]
	v_add_f64 v[18:19], v[28:29], v[18:19]
	;; [unrolled: 7-line block ×3, first 2 shown]
	v_add_f64 v[4:5], v[4:5], -v[198:199]
	v_add_f64 v[8:9], v[8:9], v[10:11]
	v_mul_f64 v[10:11], v[160:161], s[24:25]
	v_add_f64 v[12:13], v[12:13], -v[172:173]
	v_add_f64 v[14:15], v[14:15], v[16:17]
	v_mul_f64 v[0:1], v[202:203], s[10:11]
	v_add_f64 v[108:109], v[4:5], v[6:7]
	v_mul_f64 v[6:7], v[162:163], s[24:25]
	v_add_f64 v[10:11], v[10:11], -v[180:181]
	v_add_f64 v[12:13], v[12:13], v[14:15]
	v_accvgpr_read_b32 v14, a140
	v_add_f64 v[0:1], v[116:117], v[0:1]
	v_mul_f64 v[4:5], v[170:171], s[16:17]
	v_add_f64 v[6:7], v[204:205], v[6:7]
	v_add_f64 v[10:11], v[10:11], v[12:13]
	v_mul_f64 v[12:13], v[140:141], s[24:25]
	v_accvgpr_read_b32 v15, a141
	v_accvgpr_read_b32 v16, a136
	v_add_f64 v[110:111], v[0:1], v[2:3]
	v_mul_f64 v[2:3], v[178:179], s[0:1]
	v_add_f64 v[4:5], v[208:209], v[4:5]
	v_add_f64 v[6:7], v[6:7], v[8:9]
	v_mul_f64 v[8:9], v[168:169], s[16:17]
	v_add_f64 v[12:13], v[14:15], v[12:13]
	v_mul_f64 v[14:15], v[142:143], s[16:17]
	v_accvgpr_read_b32 v17, a137
	v_add_f64 v[2:3], v[212:213], v[2:3]
	v_add_f64 v[4:5], v[4:5], v[6:7]
	v_mul_f64 v[6:7], v[174:175], s[0:1]
	v_add_f64 v[8:9], v[8:9], -v[184:185]
	v_add_f64 v[14:15], v[16:17], v[14:15]
	v_add_f64 v[2:3], v[2:3], v[4:5]
	v_mul_f64 v[4:5], v[190:191], s[20:21]
	v_add_f64 v[6:7], v[6:7], -v[188:189]
	v_add_f64 v[8:9], v[8:9], v[10:11]
	v_mul_f64 v[10:11], v[148:149], s[18:19]
	v_add_f64 v[14:15], v[30:31], v[14:15]
	v_add_f64 v[4:5], v[4:5], -v[194:195]
	v_add_f64 v[6:7], v[6:7], v[8:9]
	v_mul_f64 v[8:9], v[156:157], s[0:1]
	v_add_f64 v[10:11], v[126:127], v[10:11]
	v_add_f64 v[12:13], v[12:13], v[14:15]
	;; [unrolled: 1-line block ×3, first 2 shown]
	v_mul_f64 v[6:7], v[162:163], s[10:11]
	v_add_f64 v[8:9], v[132:133], v[8:9]
	v_add_f64 v[10:11], v[10:11], v[12:13]
	v_add_f64 v[6:7], v[136:137], v[6:7]
	v_add_f64 v[8:9], v[8:9], v[10:11]
	v_accvgpr_read_b32 v10, a142
	v_add_f64 v[6:7], v[6:7], v[8:9]
	v_mul_f64 v[8:9], v[168:169], s[22:23]
	v_accvgpr_read_b32 v11, a143
	v_accvgpr_read_b32 v12, a138
	v_add_f64 v[8:9], v[8:9], -v[10:11]
	v_mul_f64 v[10:11], v[160:161], s[10:11]
	v_accvgpr_read_b32 v13, a139
	v_accvgpr_read_b32 v14, a134
	v_add_f64 v[10:11], v[10:11], -v[12:13]
	;; [unrolled: 4-line block ×5, first 2 shown]
	v_mul_f64 v[18:19], v[128:129], s[16:17]
	v_accvgpr_read_b32 v21, a129
	v_add_f64 v[18:19], v[18:19], -v[20:21]
	v_add_f64 v[18:19], v[28:29], v[18:19]
	v_mul_f64 v[0:1], v[202:203], s[20:21]
	v_add_f64 v[16:17], v[16:17], v[18:19]
	v_add_f64 v[0:1], v[214:215], v[0:1]
	v_mul_f64 v[4:5], v[170:171], s[22:23]
	v_add_f64 v[14:15], v[14:15], v[16:17]
	;; [unrolled: 3-line block ×5, first 2 shown]
	v_add_f64 v[0:1], v[152:153], v[0:1]
	v_add_f64 v[2:3], v[2:3], v[4:5]
	v_mul_f64 v[4:5], v[190:191], s[8:9]
	v_add_f64 v[6:7], v[6:7], -v[130:131]
	v_add_f64 v[8:9], v[8:9], v[10:11]
	v_add_f64 v[4:5], v[4:5], -v[134:135]
	v_add_f64 v[6:7], v[6:7], v[8:9]
	v_add_f64 v[118:119], v[0:1], v[2:3]
	v_accvgpr_read_b32 v2, a126
	v_add_f64 v[116:117], v[4:5], v[6:7]
	v_mul_f64 v[0:1], v[202:203], s[22:23]
	v_accvgpr_read_b32 v3, a127
	v_accvgpr_read_b32 v4, a124
	v_add_f64 v[0:1], v[2:3], v[0:1]
	v_mul_f64 v[2:3], v[178:179], s[16:17]
	v_accvgpr_read_b32 v5, a125
	;; [unrolled: 4-line block ×8, first 2 shown]
	v_add_f64 v[14:15], v[16:17], v[14:15]
	v_add_f64 v[14:15], v[30:31], v[14:15]
	;; [unrolled: 1-line block ×7, first 2 shown]
	v_accvgpr_read_b32 v26, a112
	v_add_f64 v[2:3], v[2:3], v[4:5]
	v_mul_f64 v[4:5], v[190:191], s[22:23]
	v_accvgpr_read_b32 v27, a113
	v_accvgpr_read_b32 v121, a109
	v_add_f64 v[4:5], v[4:5], -v[26:27]
	v_mul_f64 v[26:27], v[174:175], s[16:17]
	v_accvgpr_read_b32 v120, a108
	v_accvgpr_read_b32 v123, a107
	v_add_f64 v[26:27], v[26:27], -v[120:121]
	v_mul_f64 v[120:121], v[168:169], s[0:1]
	v_accvgpr_read_b32 v122, a106
	v_accvgpr_read_b32 v125, a105
	;; [unrolled: 1-line block ×3, first 2 shown]
	v_mul_f64 v[20:21], v[128:129], s[10:11]
	v_add_f64 v[120:121], v[120:121], -v[122:123]
	v_mul_f64 v[122:123], v[160:161], s[8:9]
	v_accvgpr_read_b32 v124, a104
	v_accvgpr_read_b32 v127, a103
	;; [unrolled: 1-line block ×4, first 2 shown]
	v_mul_f64 v[16:17], v[128:129], s[0:1]
	v_mul_f64 v[12:13], v[128:129], s[8:9]
	v_mul_f64 v[24:25], v[138:139], s[20:21]
	v_add_f64 v[122:123], v[122:123], -v[124:125]
	v_mul_f64 v[124:125], v[154:155], s[18:19]
	v_accvgpr_read_b32 v126, a102
	v_accvgpr_read_b32 v129, a101
	;; [unrolled: 1-line block ×3, first 2 shown]
	v_add_f64 v[20:21], v[20:21], -v[136:137]
	v_add_f64 v[124:125], v[124:125], -v[126:127]
	v_mul_f64 v[126:127], v[146:147], s[24:25]
	v_accvgpr_read_b32 v128, a100
	v_add_f64 v[24:25], v[24:25], -v[130:131]
	v_add_f64 v[20:21], v[28:29], v[20:21]
	v_add_f64 v[126:127], v[126:127], -v[128:129]
	v_add_f64 v[20:21], v[24:25], v[20:21]
	v_mul_f64 v[14:15], v[142:143], s[0:1]
	v_mul_f64 v[18:19], v[142:143], s[8:9]
	v_add_f64 v[20:21], v[126:127], v[20:21]
	v_mul_f64 v[126:127], v[160:161], s[18:19]
	v_mul_f64 v[142:143], v[160:161], s[22:23]
	v_accvgpr_read_b32 v161, a93
	v_mul_f64 v[150:151], v[178:179], s[10:11]
	v_accvgpr_read_b32 v160, a92
	v_add_f64 v[150:151], v[160:161], v[150:151]
	v_accvgpr_read_b32 v161, a91
	v_mul_f64 v[130:131], v[148:149], s[10:11]
	v_mul_f64 v[134:135], v[148:149], s[20:21]
	;; [unrolled: 1-line block ×3, first 2 shown]
	v_accvgpr_read_b32 v160, a90
	v_add_f64 v[148:149], v[160:161], v[148:149]
	v_accvgpr_read_b32 v161, a87
	v_mul_f64 v[144:145], v[162:163], s[22:23]
	v_accvgpr_read_b32 v160, a86
	v_add_f64 v[144:145], v[160:161], v[144:145]
	v_accvgpr_read_b32 v161, a83
	v_mul_f64 v[8:9], v[140:141], s[8:9]
	v_mul_f64 v[6:7], v[140:141], s[16:17]
	;; [unrolled: 1-line block ×3, first 2 shown]
	v_accvgpr_read_b32 v160, a82
	v_add_f64 v[140:141], v[160:161], v[140:141]
	v_accvgpr_read_b32 v161, a79
	v_accvgpr_read_b32 v160, a78
	v_add_f64 v[134:135], v[160:161], v[134:135]
	v_accvgpr_read_b32 v161, a75
	;; [unrolled: 3-line block ×3, first 2 shown]
	v_accvgpr_read_b32 v160, a72
	v_add_f64 v[18:19], v[160:161], v[18:19]
	v_add_f64 v[18:19], v[30:31], v[18:19]
	;; [unrolled: 1-line block ×5, first 2 shown]
	v_accvgpr_read_b32 v141, a77
	v_accvgpr_read_b32 v140, a76
	v_add_f64 v[140:141], v[142:143], -v[140:141]
	v_accvgpr_read_b32 v143, a71
	v_mul_f64 v[22:23], v[138:139], s[8:9]
	v_mul_f64 v[10:11], v[138:139], s[16:17]
	;; [unrolled: 1-line block ×3, first 2 shown]
	v_accvgpr_read_b32 v142, a70
	v_add_f64 v[138:139], v[138:139], -v[142:143]
	v_accvgpr_read_b32 v143, a69
	v_mul_f64 v[132:133], v[146:147], s[20:21]
	v_accvgpr_read_b32 v142, a68
	v_add_f64 v[132:133], v[132:133], -v[142:143]
	v_accvgpr_read_b32 v143, a67
	v_accvgpr_read_b32 v142, a66
	v_add_f64 v[20:21], v[124:125], v[20:21]
	v_add_f64 v[10:11], v[10:11], -v[142:143]
	v_accvgpr_read_b32 v143, a65
	v_add_f64 v[20:21], v[122:123], v[20:21]
	v_accvgpr_read_b32 v142, a64
	v_add_f64 v[20:21], v[120:121], v[20:21]
	v_add_f64 v[12:13], v[12:13], -v[142:143]
	v_add_f64 v[20:21], v[26:27], v[20:21]
	v_accvgpr_read_b32 v135, a85
	v_add_f64 v[12:13], v[28:29], v[12:13]
	v_add_f64 v[2:3], v[0:1], v[2:3]
	;; [unrolled: 1-line block ×3, first 2 shown]
	v_mul_f64 v[4:5], v[174:175], s[10:11]
	v_accvgpr_read_b32 v134, a84
	v_add_f64 v[10:11], v[10:11], v[12:13]
	v_add_f64 v[4:5], v[4:5], -v[134:135]
	v_accvgpr_read_b32 v135, a81
	v_add_f64 v[10:11], v[132:133], v[10:11]
	v_mul_f64 v[128:129], v[146:147], s[10:11]
	v_mul_f64 v[146:147], v[168:169], s[18:19]
	v_accvgpr_read_b32 v134, a80
	v_add_f64 v[10:11], v[138:139], v[10:11]
	v_accvgpr_read_b32 v12, a58
	v_mul_f64 v[20:21], v[178:179], s[22:23]
	v_accvgpr_read_b32 v18, a88
	v_add_f64 v[134:135], v[146:147], -v[134:135]
	v_add_f64 v[10:11], v[140:141], v[10:11]
	v_accvgpr_read_b32 v13, a59
	v_mul_f64 v[158:159], v[190:191], s[0:1]
	v_accvgpr_read_b32 v19, a89
	v_add_f64 v[10:11], v[134:135], v[10:11]
	v_add_f64 v[12:13], v[12:13], v[20:21]
	v_accvgpr_read_b32 v20, a50
	v_mul_f64 v[124:125], v[162:163], s[18:19]
	v_add_f64 v[18:19], v[158:159], -v[18:19]
	v_add_f64 v[4:5], v[4:5], v[10:11]
	v_accvgpr_read_b32 v21, a51
	v_add_f64 v[4:5], v[18:19], v[4:5]
	v_accvgpr_read_b32 v18, a54
	;; [unrolled: 2-line block ×3, first 2 shown]
	v_mul_f64 v[120:121], v[170:171], s[20:21]
	v_accvgpr_read_b32 v19, a55
	v_accvgpr_read_b32 v124, a38
	v_add_f64 v[18:19], v[18:19], v[120:121]
	v_accvgpr_read_b32 v121, a47
	v_add_f64 v[8:9], v[124:125], v[8:9]
	v_accvgpr_read_b32 v125, a37
	v_mul_f64 v[24:25], v[156:157], s[16:17]
	v_accvgpr_read_b32 v120, a46
	v_accvgpr_read_b32 v124, a36
	v_add_f64 v[24:25], v[120:121], v[24:25]
	v_accvgpr_read_b32 v121, a43
	v_add_f64 v[14:15], v[124:125], v[14:15]
	;; [unrolled: 2-line block ×3, first 2 shown]
	v_add_f64 v[120:121], v[120:121], v[130:131]
	v_add_f64 v[8:9], v[8:9], v[14:15]
	;; [unrolled: 1-line block ×7, first 2 shown]
	v_accvgpr_read_b32 v12, a56
	v_mul_f64 v[26:27], v[174:175], s[22:23]
	v_accvgpr_read_b32 v13, a57
	v_add_f64 v[12:13], v[26:27], -v[12:13]
	v_accvgpr_read_b32 v26, a34
	v_accvgpr_read_b32 v27, a35
	v_add_f64 v[22:23], v[22:23], -v[26:27]
	v_accvgpr_read_b32 v26, a32
	v_accvgpr_read_b32 v27, a33
	;; [unrolled: 1-line block ×3, first 2 shown]
	v_add_f64 v[16:17], v[16:17], -v[26:27]
	v_accvgpr_read_b32 v20, a44
	v_accvgpr_read_b32 v25, a41
	v_add_f64 v[16:17], v[28:29], v[16:17]
	v_mul_f64 v[136:137], v[154:155], s[16:17]
	v_accvgpr_read_b32 v10, a62
	v_accvgpr_read_b32 v18, a48
	;; [unrolled: 1-line block ×3, first 2 shown]
	v_add_f64 v[24:25], v[128:129], -v[24:25]
	v_add_f64 v[16:17], v[22:23], v[16:17]
	v_mul_f64 v[156:157], v[202:203], s[24:25]
	v_accvgpr_read_b32 v11, a63
	v_accvgpr_read_b32 v14, a52
	;; [unrolled: 1-line block ×3, first 2 shown]
	v_add_f64 v[20:21], v[136:137], -v[20:21]
	v_add_f64 v[16:17], v[24:25], v[16:17]
	v_mul_f64 v[122:123], v[168:169], s[20:21]
	v_accvgpr_read_b32 v155, a95
	v_add_f64 v[10:11], v[10:11], v[156:157]
	v_accvgpr_read_b32 v15, a53
	v_add_f64 v[18:19], v[126:127], -v[18:19]
	v_add_f64 v[16:17], v[20:21], v[16:17]
	v_mul_f64 v[152:153], v[202:203], s[0:1]
	v_accvgpr_read_b32 v154, a94
	v_add_f64 v[10:11], v[10:11], v[8:9]
	v_accvgpr_read_b32 v8, a60
	v_add_f64 v[14:15], v[122:123], -v[14:15]
	v_add_f64 v[16:17], v[18:19], v[16:17]
	v_add_f64 v[152:153], v[154:155], v[152:153]
	v_mul_f64 v[154:155], v[190:191], s[24:25]
	v_accvgpr_read_b32 v9, a61
	v_add_f64 v[14:15], v[14:15], v[16:17]
	v_add_f64 v[8:9], v[154:155], -v[8:9]
	v_add_f64 v[12:13], v[12:13], v[14:15]
	v_add_f64 v[8:9], v[8:9], v[12:13]
	;; [unrolled: 1-line block ×35, first 2 shown]
	v_accvgpr_read_b32 v16, a3
	v_add_f64 v[6:7], v[150:151], v[6:7]
	v_add_f64 v[12:13], v[12:13], v[96:97]
	v_lshlrev_b32_e32 v16, 4, v16
	v_add_f64 v[6:7], v[152:153], v[6:7]
	ds_write_b128 v16, v[12:15]
	ds_write_b128 v16, v[8:11] offset:16
	ds_write_b128 v16, v[4:7] offset:32
	;; [unrolled: 1-line block ×16, first 2 shown]
.LBB0_7:
	s_or_b64 exec, exec, s[26:27]
	v_accvgpr_read_b32 v163, a1
	s_movk_i32 s0, 0xf1
	v_accvgpr_read_b32 v162, a0
	v_mul_lo_u16_sdwa v0, v162, s0 dst_sel:DWORD dst_unused:UNUSED_PAD src0_sel:BYTE_0 src1_sel:DWORD
	v_lshrrev_b16_e32 v28, 12, v0
	v_mul_lo_u16_e32 v0, 17, v28
	v_sub_u16_e32 v0, v162, v0
	v_and_b32_e32 v29, 0xff, v0
	v_lshlrev_b32_e32 v0, 7, v29
	s_load_dwordx4 s[8:11], s[2:3], 0x0
	s_waitcnt lgkmcnt(0)
	s_barrier
	global_load_dwordx4 v[176:179], v0, s[6:7]
	global_load_dwordx4 v[172:175], v0, s[6:7] offset:16
	global_load_dwordx4 v[168:171], v0, s[6:7] offset:32
	;; [unrolled: 1-line block ×7, first 2 shown]
	ds_read_b128 v[60:63], v196
	ds_read_b128 v[0:3], v196 offset:1632
	ds_read_b128 v[4:7], v196 offset:3264
	;; [unrolled: 1-line block ×8, first 2 shown]
	s_mov_b32 s18, 0xa2cf5039
	s_mov_b32 s1, 0x3fe491b7
	;; [unrolled: 1-line block ×16, first 2 shown]
	v_mul_u32_u24_e32 v28, 0x99, v28
	v_add_lshl_u32 v158, v28, v29, 4
	s_waitcnt lgkmcnt(0)
	s_barrier
	s_waitcnt vmcnt(7)
	v_mul_f64 v[68:69], v[2:3], v[178:179]
	v_mul_f64 v[70:71], v[0:1], v[178:179]
	s_waitcnt vmcnt(5)
	v_mul_f64 v[78:79], v[8:9], v[170:171]
	v_mul_f64 v[72:73], v[6:7], v[174:175]
	;; [unrolled: 1-line block ×4, first 2 shown]
	s_waitcnt vmcnt(2)
	v_mul_f64 v[92:93], v[22:23], v[190:191]
	s_waitcnt vmcnt(0)
	v_mul_f64 v[100:101], v[66:67], v[182:183]
	v_mul_f64 v[102:103], v[64:65], v[182:183]
	;; [unrolled: 1-line block ×4, first 2 shown]
	v_fma_f64 v[0:1], v[0:1], v[176:177], -v[68:69]
	v_fmac_f64_e32 v[70:71], v[2:3], v[176:177]
	v_fmac_f64_e32 v[78:79], v[10:11], v[168:169]
	v_fma_f64 v[10:11], v[64:65], v[180:181], -v[100:101]
	v_fmac_f64_e32 v[102:103], v[66:67], v[180:181]
	v_mul_f64 v[94:95], v[20:21], v[190:191]
	v_fma_f64 v[2:3], v[4:5], v[172:173], -v[72:73]
	v_fmac_f64_e32 v[74:75], v[6:7], v[172:173]
	v_fma_f64 v[4:5], v[8:9], v[168:169], -v[76:77]
	v_fma_f64 v[6:7], v[20:21], v[188:189], -v[92:93]
	;; [unrolled: 1-line block ×3, first 2 shown]
	v_fmac_f64_e32 v[98:99], v[26:27], v[184:185]
	v_add_f64 v[26:27], v[70:71], v[102:103]
	v_add_f64 v[20:21], v[0:1], -v[10:11]
	v_mul_f64 v[80:81], v[14:15], v[166:167]
	v_mul_f64 v[88:89], v[12:13], v[166:167]
	;; [unrolled: 1-line block ×4, first 2 shown]
	v_fmac_f64_e32 v[94:95], v[22:23], v[188:189]
	v_add_f64 v[24:25], v[0:1], v[10:11]
	v_add_f64 v[64:65], v[2:3], v[8:9]
	;; [unrolled: 1-line block ×4, first 2 shown]
	v_add_f64 v[22:23], v[70:71], -v[102:103]
	v_add_f64 v[70:71], v[2:3], -v[8:9]
	;; [unrolled: 1-line block ×3, first 2 shown]
	v_mul_f64 v[4:5], v[20:21], s[0:1]
	v_fma_f64 v[2:3], s[18:19], v[26:27], v[62:63]
	v_fma_f64 v[68:69], v[12:13], v[164:165], -v[80:81]
	v_fmac_f64_e32 v[88:89], v[14:15], v[164:165]
	v_fma_f64 v[72:73], v[16:17], v[192:193], -v[82:83]
	v_fmac_f64_e32 v[90:91], v[18:19], v[192:193]
	v_add_f64 v[92:93], v[78:79], v[94:95]
	v_add_f64 v[74:75], v[74:75], -v[98:99]
	v_mul_f64 v[6:7], v[22:23], s[0:1]
	v_fma_f64 v[0:1], s[18:19], v[24:25], v[60:61]
	v_fmac_f64_e32 v[4:5], s[2:3], v[70:71]
	v_fmac_f64_e32 v[2:3], s[22:23], v[66:67]
	v_add_f64 v[78:79], v[78:79], -v[94:95]
	v_add_f64 v[94:95], v[68:69], -v[72:73]
	v_fmac_f64_e32 v[6:7], s[2:3], v[74:75]
	v_fmac_f64_e32 v[4:5], s[16:17], v[96:97]
	;; [unrolled: 1-line block ×3, first 2 shown]
	v_fmac_f64_e32 v[2:3], -0.5, v[92:93]
	v_add_f64 v[102:103], v[88:89], v[90:91]
	v_add_f64 v[98:99], v[88:89], -v[90:91]
	v_fmac_f64_e32 v[6:7], s[16:17], v[78:79]
	v_fmac_f64_e32 v[4:5], s[20:21], v[94:95]
	v_fmac_f64_e32 v[0:1], -0.5, v[76:77]
	v_add_f64 v[100:101], v[68:69], v[72:73]
	v_fmac_f64_e32 v[2:3], s[24:25], v[102:103]
	v_fmac_f64_e32 v[6:7], s[20:21], v[98:99]
	;; [unrolled: 1-line block ×3, first 2 shown]
	v_add_f64 v[2:3], v[2:3], -v[4:5]
	v_add_f64 v[0:1], v[6:7], v[0:1]
	v_mov_b64_e32 v[82:83], v[2:3]
	s_mov_b32 s1, 0xbfe491b7
	v_mov_b64_e32 v[80:81], v[0:1]
	v_fmac_f64_e32 v[82:83], 2.0, v[4:5]
	v_mul_f64 v[10:11], v[98:99], s[0:1]
	v_fma_f64 v[4:5], s[18:19], v[100:101], v[60:61]
	v_fmac_f64_e32 v[80:81], -2.0, v[6:7]
	v_mul_f64 v[12:13], v[94:95], s[0:1]
	v_fmac_f64_e32 v[10:11], s[2:3], v[22:23]
	v_fma_f64 v[6:7], s[18:19], v[102:103], v[62:63]
	v_fmac_f64_e32 v[4:5], s[22:23], v[24:25]
	v_fmac_f64_e32 v[12:13], s[2:3], v[20:21]
	v_fmac_f64_e32 v[10:11], s[26:27], v[78:79]
	v_fmac_f64_e32 v[6:7], s[22:23], v[26:27]
	v_fmac_f64_e32 v[4:5], -0.5, v[76:77]
	v_fmac_f64_e32 v[12:13], s[26:27], v[96:97]
	v_fmac_f64_e32 v[10:11], s[20:21], v[74:75]
	v_fmac_f64_e32 v[6:7], -0.5, v[92:93]
	v_fmac_f64_e32 v[4:5], s[24:25], v[64:65]
	v_fmac_f64_e32 v[12:13], s[20:21], v[70:71]
	;; [unrolled: 1-line block ×3, first 2 shown]
	v_add_f64 v[4:5], v[10:11], v[4:5]
	v_add_f64 v[6:7], v[6:7], -v[12:13]
	v_mov_b64_e32 v[8:9], v[4:5]
	v_fmac_f64_e32 v[8:9], -2.0, v[10:11]
	v_mov_b64_e32 v[10:11], v[6:7]
	v_fmac_f64_e32 v[10:11], 2.0, v[12:13]
	v_add_f64 v[12:13], v[94:95], v[20:21]
	v_add_f64 v[14:15], v[98:99], v[22:23]
	v_mul_f64 v[94:95], v[94:95], s[2:3]
	v_mul_f64 v[98:99], v[98:99], s[2:3]
	v_add_f64 v[16:17], v[12:13], -v[70:71]
	v_add_f64 v[18:19], v[14:15], -v[74:75]
	v_fma_f64 v[70:71], v[70:71], s[0:1], -v[94:95]
	v_fma_f64 v[74:75], v[74:75], s[0:1], -v[98:99]
	v_add_f64 v[108:109], v[64:65], v[24:25]
	v_add_f64 v[110:111], v[66:67], v[26:27]
	v_fmac_f64_e32 v[70:71], s[16:17], v[96:97]
	v_fmac_f64_e32 v[74:75], s[16:17], v[78:79]
	;; [unrolled: 1-line block ×4, first 2 shown]
	v_add_f64 v[20:21], v[76:77], v[108:109]
	v_add_f64 v[22:23], v[92:93], v[110:111]
	;; [unrolled: 1-line block ×10, first 2 shown]
	v_fmac_f64_e32 v[60:61], s[18:19], v[64:65]
	v_fmac_f64_e32 v[62:63], s[18:19], v[66:67]
	;; [unrolled: 1-line block ×4, first 2 shown]
	v_add_f64 v[112:113], v[100:101], v[108:109]
	v_add_f64 v[114:115], v[102:103], v[110:111]
	v_fmac_f64_e32 v[60:61], -0.5, v[76:77]
	v_fmac_f64_e32 v[62:63], -0.5, v[92:93]
	;; [unrolled: 1-line block ×4, first 2 shown]
	v_fmac_f64_e32 v[60:61], s[24:25], v[24:25]
	v_fmac_f64_e32 v[62:63], s[24:25], v[26:27]
	v_fmac_f64_e32 v[12:13], s[16:17], v[18:19]
	v_fmac_f64_e32 v[14:15], s[26:27], v[16:17]
	v_add_f64 v[24:25], v[74:75], v[60:61]
	v_add_f64 v[26:27], v[62:63], -v[70:71]
	v_mul_f64 v[104:105], v[16:17], s[16:17]
	v_mul_f64 v[106:107], v[18:19], s[16:17]
	v_mov_b64_e32 v[16:17], v[12:13]
	v_mov_b64_e32 v[18:19], v[14:15]
	v_mov_b64_e32 v[60:61], v[24:25]
	v_mov_b64_e32 v[62:63], v[26:27]
	v_fmac_f64_e32 v[16:17], -2.0, v[106:107]
	v_fmac_f64_e32 v[18:19], 2.0, v[104:105]
	v_fmac_f64_e32 v[60:61], -2.0, v[74:75]
	v_fmac_f64_e32 v[62:63], 2.0, v[70:71]
	ds_write_b128 v158, v[20:23]
	ds_write_b128 v158, v[0:3] offset:272
	ds_write_b128 v158, v[4:7] offset:544
	ds_write_b128 v158, v[12:15] offset:816
	ds_write_b128 v158, v[24:27] offset:1088
	ds_write_b128 v158, v[60:63] offset:1360
	ds_write_b128 v158, v[16:19] offset:1632
	ds_write_b128 v158, v[8:11] offset:1904
	ds_write_b128 v158, v[80:83] offset:2176
	s_waitcnt lgkmcnt(0)
	s_barrier
	ds_read_b128 v[104:107], v196
	ds_read_b128 v[92:95], v196 offset:1632
	ds_read_b128 v[112:115], v196 offset:7344
	;; [unrolled: 1-line block ×7, first 2 shown]
	v_cmp_gt_u16_e64 s[2:3], 51, v162
	s_and_saveexec_b64 s[0:1], s[2:3]
	s_cbranch_execz .LBB0_9
; %bb.8:
	ds_read_b128 v[80:83], v196 offset:6528
	ds_read_b128 v[84:87], v196 offset:13872
.LBB0_9:
	s_or_b64 exec, exec, s[0:1]
	s_mov_b64 s[0:1], 0x66
	v_lshl_add_u64 v[120:121], v[162:163], 0, s[0:1]
	s_movk_i32 s0, 0xffcd
	s_mov_b32 s1, -1
	v_lshl_add_u64 v[0:1], v[162:163], 0, s[0:1]
	v_add_u32_e32 v4, 0x132, v162
	v_cndmask_b32_e64 v3, v1, v121, s[2:3]
	v_cndmask_b32_e64 v2, v0, v120, s[2:3]
	s_movk_i32 s0, 0x358b
	v_lshl_add_u64 v[0:1], v[2:3], 4, s[6:7]
	v_mul_u32_u24_sdwa v3, v4, s0 dst_sel:DWORD dst_unused:UNUSED_PAD src0_sel:WORD_0 src1_sel:DWORD
	v_lshrrev_b32_e32 v3, 21, v3
	v_mul_lo_u16_e32 v3, 0x99, v3
	v_add_u32_e32 v5, 0x198, v162
	v_sub_u16_e32 v3, v4, v3
	global_load_dwordx4 v[70:73], v196, s[6:7] offset:2176
	global_load_dwordx4 v[10:13], v196, s[6:7] offset:2992
	v_lshlrev_b32_e32 v159, 4, v3
	global_load_dwordx4 v[76:79], v[0:1], off offset:2176
	global_load_dwordx4 v[24:27], v159, s[6:7] offset:2176
	v_mul_u32_u24_sdwa v0, v5, s0 dst_sel:DWORD dst_unused:UNUSED_PAD src0_sel:WORD_0 src1_sel:DWORD
	v_lshrrev_b32_e32 v0, 21, v0
	v_mul_lo_u16_e32 v0, 0x99, v0
	v_sub_u16_e32 v0, v5, v0
	v_lshlrev_b32_e32 v64, 4, v0
	global_load_dwordx4 v[66:69], v64, s[6:7] offset:2176
	v_mov_b32_e32 v3, 0x132
	v_cmp_lt_u16_e32 vcc, 50, v162
	s_waitcnt lgkmcnt(0)
	s_barrier
	v_cndmask_b32_e32 v3, 0, v3, vcc
	v_add_lshl_u32 v65, v2, v3, 4
	v_mov_b32_e32 v197, 0
	v_lshl_add_u64 v[0:1], s[6:7], 0, v[196:197]
	s_waitcnt vmcnt(4)
	v_mul_f64 v[2:3], v[114:115], v[72:73]
	v_mul_f64 v[4:5], v[112:113], v[72:73]
	v_fma_f64 v[2:3], v[112:113], v[70:71], -v[2:3]
	v_fmac_f64_e32 v[4:5], v[114:115], v[70:71]
	s_waitcnt vmcnt(3)
	v_mul_f64 v[6:7], v[118:119], v[12:13]
	v_mul_f64 v[8:9], v[116:117], v[12:13]
	v_accvgpr_write_b32 a47, v13
	v_add_f64 v[2:3], v[104:105], -v[2:3]
	v_add_f64 v[4:5], v[106:107], -v[4:5]
	v_fma_f64 v[6:7], v[116:117], v[10:11], -v[6:7]
	v_accvgpr_write_b32 a46, v12
	v_accvgpr_write_b32 a45, v11
	;; [unrolled: 1-line block ×3, first 2 shown]
	v_fmac_f64_e32 v[8:9], v[118:119], v[10:11]
	v_fma_f64 v[10:11], v[104:105], 2.0, -v[2:3]
	v_fma_f64 v[12:13], v[106:107], 2.0, -v[4:5]
	ds_write_b128 v196, v[2:5] offset:2448
	s_waitcnt vmcnt(2)
	v_mul_f64 v[2:3], v[102:103], v[78:79]
	v_mul_f64 v[4:5], v[100:101], v[78:79]
	ds_write_b128 v196, v[10:13]
	v_fma_f64 v[2:3], v[100:101], v[76:77], -v[2:3]
	v_fmac_f64_e32 v[4:5], v[102:103], v[76:77]
	s_waitcnt vmcnt(1)
	v_mul_f64 v[10:11], v[98:99], v[26:27]
	v_mul_f64 v[18:19], v[96:97], v[26:27]
	s_waitcnt vmcnt(0)
	v_mul_f64 v[12:13], v[86:87], v[68:69]
	v_mul_f64 v[20:21], v[84:85], v[68:69]
	v_add_f64 v[2:3], v[92:93], -v[2:3]
	v_add_f64 v[4:5], v[94:95], -v[4:5]
	v_fma_f64 v[22:23], v[96:97], v[24:25], -v[10:11]
	v_accvgpr_write_b32 a51, v27
	v_fmac_f64_e32 v[18:19], v[98:99], v[24:25]
	v_add_f64 v[6:7], v[108:109], -v[6:7]
	v_add_f64 v[8:9], v[110:111], -v[8:9]
	v_accvgpr_write_b32 a50, v26
	v_accvgpr_write_b32 a49, v25
	v_accvgpr_write_b32 a48, v24
	v_fma_f64 v[24:25], v[84:85], v[66:67], -v[12:13]
	v_fmac_f64_e32 v[20:21], v[86:87], v[66:67]
	v_fma_f64 v[10:11], v[92:93], 2.0, -v[2:3]
	v_fma_f64 v[12:13], v[94:95], 2.0, -v[4:5]
	ds_write_b128 v65, v[2:5] offset:2448
	v_add_f64 v[2:3], v[88:89], -v[22:23]
	v_add_f64 v[4:5], v[90:91], -v[18:19]
	v_fma_f64 v[14:15], v[108:109], 2.0, -v[6:7]
	v_fma_f64 v[16:17], v[110:111], 2.0, -v[8:9]
	v_add_f64 v[104:105], v[80:81], -v[24:25]
	v_add_f64 v[106:107], v[82:83], -v[20:21]
	ds_write_b128 v65, v[10:13]
	ds_write_b128 v196, v[14:17] offset:5712
	ds_write_b128 v196, v[6:9] offset:8160
	v_fma_f64 v[6:7], v[88:89], 2.0, -v[2:3]
	v_fma_f64 v[8:9], v[90:91], 2.0, -v[4:5]
	ds_write_b128 v159, v[6:9] offset:9792
	ds_write_b128 v159, v[2:5] offset:12240
	s_mov_b64 s[0:1], exec
	v_accvgpr_read_b32 v33, a7
	v_accvgpr_read_b32 v37, a11
	;; [unrolled: 1-line block ×7, first 2 shown]
	s_and_b64 s[16:17], s[0:1], s[2:3]
	v_accvgpr_read_b32 v32, a6
	v_accvgpr_read_b32 v31, a5
	;; [unrolled: 1-line block ×21, first 2 shown]
	s_mov_b64 exec, s[16:17]
	s_cbranch_execz .LBB0_11
; %bb.10:
	v_fma_f64 v[4:5], v[82:83], 2.0, -v[106:107]
	v_fma_f64 v[2:3], v[80:81], 2.0, -v[104:105]
	ds_write_b128 v64, v[2:5] offset:9792
	ds_write_b128 v64, v[104:107] offset:12240
.LBB0_11:
	s_or_b64 exec, exec, s[0:1]
	v_lshl_add_u64 v[0:1], v[0:1], 0, v[196:197]
	s_mov_b64 s[0:1], 0x1210
	s_movk_i32 s16, 0x1000
	v_lshl_add_u64 v[2:3], v[0:1], 0, s[0:1]
	v_add_co_u32_e32 v0, vcc, s16, v0
	s_waitcnt lgkmcnt(0)
	s_nop 0
	v_addc_co_u32_e32 v1, vcc, 0, v1, vcc
	s_barrier
	global_load_dwordx4 v[80:83], v[0:1], off offset:528
	global_load_dwordx4 v[84:87], v[2:3], off offset:16
	v_lshlrev_b32_e32 v0, 5, v120
	v_mov_b32_e32 v1, v197
	v_lshl_add_u64 v[0:1], s[6:7], 0, v[0:1]
	v_lshl_add_u64 v[2:3], v[0:1], 0, s[0:1]
	v_add_co_u32_e32 v0, vcc, s16, v0
	s_nop 1
	v_addc_co_u32_e32 v1, vcc, 0, v1, vcc
	global_load_dwordx4 v[88:91], v[0:1], off offset:528
	global_load_dwordx4 v[92:95], v[2:3], off offset:16
	v_mov_b32_e32 v0, 0x1980
	v_lshl_add_u32 v0, v162, 5, v0
	v_mov_b32_e32 v1, v197
	v_lshl_add_u64 v[0:1], s[6:7], 0, v[0:1]
	v_add_co_u32_e32 v2, vcc, s16, v0
	s_mov_b32 s7, 0xbfebb67a
	s_nop 0
	v_addc_co_u32_e32 v3, vcc, 0, v1, vcc
	global_load_dwordx4 v[96:99], v[2:3], off offset:528
	v_lshl_add_u64 v[0:1], v[0:1], 0, s[0:1]
	global_load_dwordx4 v[100:103], v[0:1], off offset:16
	ds_read_b128 v[108:111], v196
	ds_read_b128 v[112:115], v196 offset:1632
	ds_read_b128 v[0:3], v196 offset:9792
	;; [unrolled: 1-line block ×8, first 2 shown]
	s_mov_b32 s0, 0xe8584caa
	s_mov_b32 s1, 0x3febb67a
	;; [unrolled: 1-line block ×3, first 2 shown]
	s_waitcnt vmcnt(5) lgkmcnt(4)
	v_mul_f64 v[24:25], v[10:11], v[82:83]
	s_waitcnt vmcnt(4)
	v_mul_f64 v[122:123], v[0:1], v[86:87]
	v_mul_f64 v[26:27], v[8:9], v[82:83]
	;; [unrolled: 1-line block ×3, first 2 shown]
	v_fma_f64 v[8:9], v[8:9], v[80:81], -v[24:25]
	v_fmac_f64_e32 v[122:123], v[2:3], v[84:85]
	v_fmac_f64_e32 v[26:27], v[10:11], v[80:81]
	v_fma_f64 v[0:1], v[0:1], v[84:85], -v[120:121]
	v_add_f64 v[120:121], v[108:109], v[8:9]
	v_add_f64 v[124:125], v[8:9], v[0:1]
	s_waitcnt vmcnt(3) lgkmcnt(2)
	v_mul_f64 v[2:3], v[14:15], v[90:91]
	s_waitcnt vmcnt(2)
	v_mul_f64 v[24:25], v[6:7], v[94:95]
	v_fma_f64 v[2:3], v[12:13], v[88:89], -v[2:3]
	v_mul_f64 v[10:11], v[12:13], v[90:91]
	v_mul_f64 v[134:135], v[4:5], v[94:95]
	v_fma_f64 v[4:5], v[4:5], v[92:93], -v[24:25]
	v_add_f64 v[128:129], v[110:111], v[26:27]
	v_add_f64 v[8:9], v[8:9], -v[0:1]
	v_add_f64 v[120:121], v[120:121], v[0:1]
	v_add_f64 v[0:1], v[112:113], v[2:3]
	v_fmac_f64_e32 v[10:11], v[14:15], v[88:89]
	v_fmac_f64_e32 v[134:135], v[6:7], v[92:93]
	v_add_f64 v[126:127], v[26:27], -v[122:123]
	v_add_f64 v[26:27], v[26:27], v[122:123]
	v_add_f64 v[122:123], v[128:129], v[122:123]
	;; [unrolled: 1-line block ×4, first 2 shown]
	v_fmac_f64_e32 v[112:113], -0.5, v[0:1]
	v_add_f64 v[0:1], v[10:11], -v[134:135]
	v_fma_f64 v[132:133], s[0:1], v[0:1], v[112:113]
	v_fmac_f64_e32 v[112:113], s[6:7], v[0:1]
	v_add_f64 v[0:1], v[114:115], v[10:11]
	s_waitcnt vmcnt(1) lgkmcnt(1)
	v_mul_f64 v[6:7], v[18:19], v[98:99]
	v_add_f64 v[130:131], v[0:1], v[134:135]
	v_add_f64 v[0:1], v[10:11], v[134:135]
	s_waitcnt vmcnt(0) lgkmcnt(0)
	v_mul_f64 v[14:15], v[22:23], v[102:103]
	v_fma_f64 v[6:7], v[16:17], v[96:97], -v[6:7]
	v_fmac_f64_e32 v[114:115], -0.5, v[0:1]
	v_add_f64 v[0:1], v[2:3], -v[4:5]
	v_mul_f64 v[12:13], v[16:17], v[98:99]
	v_mul_f64 v[24:25], v[20:21], v[102:103]
	v_fma_f64 v[14:15], v[20:21], v[100:101], -v[14:15]
	v_fma_f64 v[134:135], s[6:7], v[0:1], v[114:115]
	v_fmac_f64_e32 v[114:115], s[0:1], v[0:1]
	v_add_f64 v[0:1], v[116:117], v[6:7]
	v_fmac_f64_e32 v[12:13], v[18:19], v[96:97]
	v_fmac_f64_e32 v[24:25], v[22:23], v[100:101]
	v_add_f64 v[136:137], v[0:1], v[14:15]
	v_add_f64 v[0:1], v[6:7], v[14:15]
	v_fmac_f64_e32 v[116:117], -0.5, v[0:1]
	v_add_f64 v[0:1], v[12:13], -v[24:25]
	v_fma_f64 v[140:141], s[0:1], v[0:1], v[116:117]
	v_fmac_f64_e32 v[116:117], s[6:7], v[0:1]
	v_add_f64 v[0:1], v[118:119], v[12:13]
	v_add_f64 v[138:139], v[0:1], v[24:25]
	v_add_f64 v[0:1], v[12:13], v[24:25]
	v_fmac_f64_e32 v[108:109], -0.5, v[124:125]
	v_fmac_f64_e32 v[110:111], -0.5, v[26:27]
	;; [unrolled: 1-line block ×3, first 2 shown]
	v_add_f64 v[0:1], v[6:7], -v[14:15]
	v_fma_f64 v[124:125], s[0:1], v[126:127], v[108:109]
	v_fmac_f64_e32 v[108:109], s[6:7], v[126:127]
	v_fma_f64 v[126:127], s[6:7], v[8:9], v[110:111]
	v_fmac_f64_e32 v[110:111], s[0:1], v[8:9]
	v_fma_f64 v[142:143], s[6:7], v[0:1], v[118:119]
	v_fmac_f64_e32 v[118:119], s[0:1], v[0:1]
	ds_write_b128 v196, v[120:123]
	ds_write_b128 v196, v[124:127] offset:4896
	ds_write_b128 v196, v[108:111] offset:9792
	;; [unrolled: 1-line block ×8, first 2 shown]
	s_waitcnt lgkmcnt(0)
	s_barrier
	s_and_saveexec_b64 s[0:1], s[4:5]
	s_cbranch_execz .LBB0_13
; %bb.12:
	v_mov_b32_e32 v197, 0
	v_lshl_add_u64 v[144:145], s[12:13], 0, v[196:197]
	v_add_co_u32_e32 v4, vcc, 0x3000, v144
	ds_read_b128 v[0:3], v196
	s_nop 0
	v_addc_co_u32_e32 v5, vcc, 0, v145, vcc
	global_load_dwordx4 v[4:7], v[4:5], off offset:2400
	s_mov_b64 s[6:7], 0x3960
	v_lshl_add_u64 v[12:13], v[144:145], 0, s[6:7]
	s_movk_i32 s6, 0x4000
	s_waitcnt vmcnt(0) lgkmcnt(0)
	v_mul_f64 v[8:9], v[2:3], v[6:7]
	v_mul_f64 v[10:11], v[0:1], v[6:7]
	v_fma_f64 v[8:9], v[0:1], v[4:5], -v[8:9]
	v_fmac_f64_e32 v[10:11], v[2:3], v[4:5]
	global_load_dwordx4 v[4:7], v[12:13], off offset:864
	ds_read_b128 v[0:3], v196 offset:864
	ds_write_b128 v196, v[8:11]
	s_waitcnt vmcnt(0) lgkmcnt(1)
	v_mul_f64 v[8:9], v[2:3], v[6:7]
	v_mul_f64 v[10:11], v[0:1], v[6:7]
	v_fma_f64 v[8:9], v[0:1], v[4:5], -v[8:9]
	v_fmac_f64_e32 v[10:11], v[2:3], v[4:5]
	global_load_dwordx4 v[4:7], v[12:13], off offset:1728
	ds_read_b128 v[0:3], v196 offset:1728
	ds_write_b128 v196, v[8:11] offset:864
	s_waitcnt vmcnt(0) lgkmcnt(1)
	v_mul_f64 v[8:9], v[2:3], v[6:7]
	v_mul_f64 v[10:11], v[0:1], v[6:7]
	v_fma_f64 v[8:9], v[0:1], v[4:5], -v[8:9]
	v_fmac_f64_e32 v[10:11], v[2:3], v[4:5]
	global_load_dwordx4 v[4:7], v[12:13], off offset:2592
	ds_read_b128 v[0:3], v196 offset:2592
	ds_write_b128 v196, v[8:11] offset:1728
	s_waitcnt vmcnt(0) lgkmcnt(1)
	v_mul_f64 v[8:9], v[2:3], v[6:7]
	v_mul_f64 v[10:11], v[0:1], v[6:7]
	v_fma_f64 v[8:9], v[0:1], v[4:5], -v[8:9]
	v_fmac_f64_e32 v[10:11], v[2:3], v[4:5]
	global_load_dwordx4 v[4:7], v[12:13], off offset:3456
	ds_read_b128 v[0:3], v196 offset:3456
	v_add_co_u32_e32 v12, vcc, s6, v144
	ds_write_b128 v196, v[8:11] offset:2592
	s_nop 0
	v_addc_co_u32_e32 v13, vcc, 0, v145, vcc
	s_movk_i32 s6, 0x5000
	s_waitcnt vmcnt(0) lgkmcnt(1)
	v_mul_f64 v[8:9], v[2:3], v[6:7]
	v_mul_f64 v[10:11], v[0:1], v[6:7]
	v_fma_f64 v[8:9], v[0:1], v[4:5], -v[8:9]
	v_fmac_f64_e32 v[10:11], v[2:3], v[4:5]
	global_load_dwordx4 v[4:7], v[12:13], off offset:2624
	ds_read_b128 v[0:3], v196 offset:4320
	ds_write_b128 v196, v[8:11] offset:3456
	s_waitcnt vmcnt(0) lgkmcnt(1)
	v_mul_f64 v[8:9], v[2:3], v[6:7]
	v_mul_f64 v[10:11], v[0:1], v[6:7]
	v_fma_f64 v[8:9], v[0:1], v[4:5], -v[8:9]
	v_fmac_f64_e32 v[10:11], v[2:3], v[4:5]
	global_load_dwordx4 v[4:7], v[12:13], off offset:3488
	ds_read_b128 v[0:3], v196 offset:5184
	v_add_co_u32_e32 v12, vcc, s6, v144
	ds_write_b128 v196, v[8:11] offset:4320
	s_nop 0
	v_addc_co_u32_e32 v13, vcc, 0, v145, vcc
	s_movk_i32 s6, 0x6000
	s_waitcnt vmcnt(0) lgkmcnt(1)
	v_mul_f64 v[8:9], v[2:3], v[6:7]
	v_mul_f64 v[10:11], v[0:1], v[6:7]
	v_fma_f64 v[8:9], v[0:1], v[4:5], -v[8:9]
	v_fmac_f64_e32 v[10:11], v[2:3], v[4:5]
	global_load_dwordx4 v[4:7], v[12:13], off offset:256
	ds_read_b128 v[0:3], v196 offset:6048
	ds_write_b128 v196, v[8:11] offset:5184
	s_waitcnt vmcnt(0) lgkmcnt(1)
	v_mul_f64 v[8:9], v[2:3], v[6:7]
	v_mul_f64 v[10:11], v[0:1], v[6:7]
	v_fma_f64 v[8:9], v[0:1], v[4:5], -v[8:9]
	v_fmac_f64_e32 v[10:11], v[2:3], v[4:5]
	global_load_dwordx4 v[4:7], v[12:13], off offset:1120
	ds_read_b128 v[0:3], v196 offset:6912
	ds_write_b128 v196, v[8:11] offset:6048
	;; [unrolled: 8-line block ×4, first 2 shown]
	s_waitcnt vmcnt(0) lgkmcnt(1)
	v_mul_f64 v[8:9], v[2:3], v[6:7]
	v_mul_f64 v[10:11], v[0:1], v[6:7]
	v_fma_f64 v[8:9], v[0:1], v[4:5], -v[8:9]
	v_fmac_f64_e32 v[10:11], v[2:3], v[4:5]
	global_load_dwordx4 v[4:7], v[12:13], off offset:3712
	ds_read_b128 v[0:3], v196 offset:9504
	v_add_co_u32_e32 v12, vcc, s6, v144
	ds_write_b128 v196, v[8:11] offset:8640
	s_nop 0
	v_addc_co_u32_e32 v13, vcc, 0, v145, vcc
	ds_read_b128 v[144:147], v196 offset:13824
	global_load_dwordx4 v[148:151], v[12:13], off offset:3936
	s_waitcnt vmcnt(1) lgkmcnt(2)
	v_mul_f64 v[8:9], v[2:3], v[6:7]
	v_mul_f64 v[10:11], v[0:1], v[6:7]
	v_fma_f64 v[8:9], v[0:1], v[4:5], -v[8:9]
	v_fmac_f64_e32 v[10:11], v[2:3], v[4:5]
	global_load_dwordx4 v[4:7], v[12:13], off offset:480
	ds_read_b128 v[0:3], v196 offset:10368
	ds_write_b128 v196, v[8:11] offset:9504
	s_waitcnt vmcnt(0) lgkmcnt(1)
	v_mul_f64 v[8:9], v[2:3], v[6:7]
	v_mul_f64 v[10:11], v[0:1], v[6:7]
	v_fma_f64 v[8:9], v[0:1], v[4:5], -v[8:9]
	v_fmac_f64_e32 v[10:11], v[2:3], v[4:5]
	global_load_dwordx4 v[4:7], v[12:13], off offset:1344
	ds_read_b128 v[0:3], v196 offset:11232
	ds_write_b128 v196, v[8:11] offset:10368
	;; [unrolled: 8-line block ×4, first 2 shown]
	s_waitcnt vmcnt(0) lgkmcnt(1)
	v_mul_f64 v[8:9], v[2:3], v[6:7]
	v_mul_f64 v[10:11], v[0:1], v[6:7]
	v_fma_f64 v[8:9], v[0:1], v[4:5], -v[8:9]
	v_fmac_f64_e32 v[10:11], v[2:3], v[4:5]
	v_mul_f64 v[0:1], v[146:147], v[150:151]
	v_mul_f64 v[2:3], v[144:145], v[150:151]
	v_fma_f64 v[0:1], v[144:145], v[148:149], -v[0:1]
	v_fmac_f64_e32 v[2:3], v[146:147], v[148:149]
	ds_write_b128 v196, v[8:11] offset:12960
	ds_write_b128 v196, v[0:3] offset:13824
.LBB0_13:
	s_or_b64 exec, exec, s[0:1]
	s_waitcnt lgkmcnt(0)
	s_barrier
	s_and_saveexec_b64 s[0:1], s[4:5]
	s_cbranch_execz .LBB0_15
; %bb.14:
	ds_read_b128 v[120:123], v196
	ds_read_b128 v[124:127], v196 offset:864
	ds_read_b128 v[108:111], v196 offset:1728
	;; [unrolled: 1-line block ×16, first 2 shown]
.LBB0_15:
	s_or_b64 exec, exec, s[0:1]
	s_mov_b32 s20, 0xacd6c6b4
	s_waitcnt lgkmcnt(0)
	v_add_f64 v[210:211], v[126:127], -v[32:33]
	s_mov_b32 s0, 0x7faef3
	s_mov_b32 s21, 0xbfc7851a
	v_add_f64 v[202:203], v[124:125], v[30:31]
	v_add_f64 v[206:207], v[126:127], v[32:33]
	s_mov_b32 s1, 0xbfef7484
	v_mul_f64 v[0:1], v[210:211], s[20:21]
	v_add_f64 v[220:221], v[124:125], -v[30:31]
	v_mul_f64 v[2:3], v[206:207], s[0:1]
	v_fma_f64 v[4:5], v[202:203], s[0:1], -v[0:1]
	s_mov_b32 s40, 0x5d8e7cdc
	v_add_f64 v[8:9], v[120:121], v[4:5]
	v_fma_f64 v[4:5], s[20:21], v[220:221], v[2:3]
	v_add_f64 v[218:219], v[110:111], -v[36:37]
	s_mov_b32 s6, 0x370991
	s_mov_b32 s41, 0x3fd71e95
	v_add_f64 v[10:11], v[122:123], v[4:5]
	v_add_f64 v[204:205], v[108:109], v[34:35]
	v_add_f64 v[212:213], v[110:111], v[36:37]
	s_mov_b32 s7, 0x3fedd6d0
	v_mul_f64 v[4:5], v[218:219], s[40:41]
	v_add_f64 v[228:229], v[108:109], -v[34:35]
	v_mul_f64 v[6:7], v[212:213], s[6:7]
	v_fma_f64 v[12:13], v[204:205], s[6:7], -v[4:5]
	s_mov_b32 s26, 0x4363dd80
	v_add_f64 v[12:13], v[12:13], v[8:9]
	v_fma_f64 v[8:9], s[40:41], v[228:229], v[6:7]
	v_add_f64 v[226:227], v[130:131], -v[40:41]
	s_mov_b32 s18, 0x910ea3b9
	s_mov_b32 s27, 0xbfe0d888
	v_add_f64 v[14:15], v[8:9], v[10:11]
	;; [unrolled: 14-line block ×6, first 2 shown]
	v_add_f64 v[240:241], v[140:141], v[54:55]
	v_add_f64 v[246:247], v[142:143], v[56:57]
	s_mov_b32 s31, 0xbfd183b1
	v_mul_f64 v[24:25], v[148:149], s[38:39]
	s_mov_b32 s58, 0xeb564b22
	v_add_f64 v[200:201], v[140:141], -v[54:55]
	v_mul_f64 v[26:27], v[246:247], s[30:31]
	v_fma_f64 v[152:153], v[240:241], s[30:31], -v[24:25]
	v_add_f64 v[198:199], v[118:119], -v[106:107]
	s_mov_b32 s36, 0x3259b75e
	s_mov_b32 s59, 0x3fefdd0d
	v_add_f64 v[144:145], v[152:153], v[144:145]
	v_fma_f64 v[152:153], s[38:39], v[200:201], v[26:27]
	v_add_f64 v[248:249], v[116:117], v[104:105]
	v_add_f64 v[254:255], v[118:119], v[106:107]
	s_mov_b32 s37, 0x3fb79ee6
	v_mul_f64 v[154:155], v[198:199], s[58:59]
	v_add_f64 v[146:147], v[152:153], v[146:147]
	v_add_f64 v[152:153], v[116:117], -v[104:105]
	v_mul_f64 v[156:157], v[254:255], s[36:37]
	v_fma_f64 v[160:161], v[248:249], s[36:37], -v[154:155]
	v_add_f64 v[144:145], v[160:161], v[144:145]
	v_fma_f64 v[160:161], s[58:59], v[152:153], v[156:157]
	v_add_f64 v[146:147], v[160:161], v[146:147]
	s_barrier
	s_and_saveexec_b64 s[16:17], s[4:5]
	s_cbranch_execz .LBB0_17
; %bb.16:
	v_mul_f64 v[162:163], v[220:221], s[20:21]
	v_accvgpr_write_b32 a4, v164
	v_accvgpr_write_b32 a5, v165
	;; [unrolled: 1-line block ×4, first 2 shown]
	v_mul_f64 v[166:167], v[228:229], s[40:41]
	v_accvgpr_write_b32 a8, v168
	v_add_f64 v[2:3], v[2:3], -v[162:163]
	v_mul_f64 v[160:161], v[202:203], s[0:1]
	v_accvgpr_write_b32 a9, v169
	v_accvgpr_write_b32 a10, v170
	;; [unrolled: 1-line block ×3, first 2 shown]
	v_mul_f64 v[170:171], v[236:237], s[26:27]
	v_accvgpr_write_b32 a12, v172
	v_add_f64 v[6:7], v[6:7], -v[166:167]
	v_add_f64 v[2:3], v[122:123], v[2:3]
	v_mul_f64 v[164:165], v[204:205], s[6:7]
	v_accvgpr_write_b32 a13, v173
	v_accvgpr_write_b32 a14, v174
	;; [unrolled: 1-line block ×3, first 2 shown]
	v_mul_f64 v[174:175], v[244:245], s[48:49]
	v_accvgpr_write_b32 a16, v176
	v_add_f64 v[10:11], v[10:11], -v[170:171]
	v_add_f64 v[2:3], v[6:7], v[2:3]
	v_add_f64 v[0:1], v[160:161], v[0:1]
	v_mul_f64 v[168:169], v[208:209], s[18:19]
	v_accvgpr_write_b32 a17, v177
	v_accvgpr_write_b32 a18, v178
	v_accvgpr_write_b32 a19, v179
	v_mul_f64 v[178:179], v[252:253], s[34:35]
	v_accvgpr_write_b32 a20, v180
	v_add_f64 v[14:15], v[14:15], -v[174:175]
	v_add_f64 v[2:3], v[10:11], v[2:3]
	v_add_f64 v[4:5], v[164:165], v[4:5]
	v_add_f64 v[0:1], v[120:121], v[0:1]
	v_mul_f64 v[172:173], v[214:215], s[22:23]
	v_accvgpr_write_b32 a21, v181
	v_accvgpr_write_b32 a22, v182
	v_accvgpr_write_b32 a23, v183
	v_mul_f64 v[182:183], v[150:151], s[42:43]
	v_accvgpr_write_b32 a24, v184
	v_add_f64 v[18:19], v[18:19], -v[178:179]
	v_add_f64 v[2:3], v[14:15], v[2:3]
	;; [unrolled: 10-line block ×3, first 2 shown]
	v_add_f64 v[12:13], v[172:173], v[12:13]
	v_add_f64 v[0:1], v[8:9], v[0:1]
	v_mul_f64 v[180:181], v[230:231], s[28:29]
	v_accvgpr_write_b32 a29, v189
	v_accvgpr_write_b32 a30, v190
	;; [unrolled: 1-line block ×3, first 2 shown]
	v_mul_f64 v[190:191], v[152:153], s[58:59]
	v_add_f64 v[26:27], v[26:27], -v[186:187]
	v_add_f64 v[2:3], v[22:23], v[2:3]
	v_add_f64 v[14:15], v[176:177], v[16:17]
	v_add_f64 v[0:1], v[12:13], v[0:1]
	v_mul_f64 v[184:185], v[240:241], s[30:31]
	v_mul_f64 v[188:189], v[248:249], s[36:37]
	v_add_f64 v[156:157], v[156:157], -v[190:191]
	v_add_f64 v[2:3], v[26:27], v[2:3]
	v_add_f64 v[10:11], v[180:181], v[20:21]
	;; [unrolled: 1-line block ×7, first 2 shown]
	v_mul_f64 v[154:155], v[220:221], s[26:27]
	v_add_f64 v[0:1], v[6:7], v[0:1]
	s_mov_b32 s47, 0xbfefdd0d
	s_mov_b32 s46, s58
	v_mul_f64 v[24:25], v[228:229], s[42:43]
	v_fma_f64 v[156:157], s[18:19], v[206:207], v[154:155]
	v_add_f64 v[16:17], v[2:3], v[0:1]
	v_accvgpr_write_b32 a55, v19
	s_mov_b32 s57, 0x3fe9895b
	s_mov_b32 s56, s34
	v_mul_f64 v[20:21], v[236:237], s[46:47]
	v_fma_f64 v[26:27], s[28:29], v[212:213], v[24:25]
	v_add_f64 v[156:157], v[122:123], v[156:157]
	v_mul_f64 v[172:173], v[210:211], s[26:27]
	v_accvgpr_write_b32 a54, v18
	v_accvgpr_write_b32 a53, v17
	;; [unrolled: 1-line block ×3, first 2 shown]
	s_mov_b32 s45, 0xbfd71e95
	s_mov_b32 s44, s40
	v_mul_f64 v[16:17], v[244:245], s[56:57]
	v_fma_f64 v[22:23], s[36:37], v[216:217], v[20:21]
	v_add_f64 v[26:27], v[26:27], v[156:157]
	v_mul_f64 v[168:169], v[218:219], s[42:43]
	v_fma_f64 v[174:175], v[202:203], s[18:19], -v[172:173]
	v_mul_f64 v[12:13], v[252:253], s[44:45]
	v_fma_f64 v[18:19], s[24:25], v[224:225], v[16:17]
	v_add_f64 v[22:23], v[22:23], v[26:27]
	v_mul_f64 v[164:165], v[226:227], s[46:47]
	v_fma_f64 v[170:171], v[204:205], s[28:29], -v[168:169]
	v_add_f64 v[174:175], v[120:121], v[174:175]
	v_mul_f64 v[8:9], v[150:151], s[20:21]
	v_fma_f64 v[14:15], s[6:7], v[232:233], v[12:13]
	v_add_f64 v[18:19], v[18:19], v[22:23]
	v_mul_f64 v[160:161], v[234:235], s[56:57]
	v_fma_f64 v[166:167], v[208:209], s[36:37], -v[164:165]
	v_add_f64 v[170:171], v[170:171], v[174:175]
	;; [unrolled: 6-line block ×4, first 2 shown]
	v_fma_f64 v[2:3], s[30:31], v[254:255], v[0:1]
	v_add_f64 v[6:7], v[6:7], v[10:11]
	v_mul_f64 v[10:11], v[148:149], s[48:49]
	v_fma_f64 v[22:23], v[230:231], s[0:1], -v[18:19]
	v_add_f64 v[156:157], v[156:157], v[162:163]
	v_add_f64 v[60:61], v[2:3], v[6:7]
	v_mul_f64 v[6:7], v[198:199], s[38:39]
	v_fma_f64 v[14:15], v[240:241], s[22:23], -v[10:11]
	v_add_f64 v[22:23], v[22:23], v[156:157]
	v_fma_f64 v[2:3], v[248:249], s[30:31], -v[6:7]
	v_add_f64 v[14:15], v[14:15], v[22:23]
	v_add_f64 v[58:59], v[2:3], v[14:15]
	v_fma_f64 v[14:15], v[216:217], s[36:37], -v[20:21]
	v_fma_f64 v[20:21], v[206:207], s[18:19], -v[154:155]
	;; [unrolled: 1-line block ×7, first 2 shown]
	v_add_f64 v[20:21], v[122:123], v[20:21]
	v_add_f64 v[16:17], v[16:17], v[20:21]
	v_add_f64 v[14:15], v[14:15], v[16:17]
	v_add_f64 v[12:13], v[12:13], v[14:15]
	v_add_f64 v[8:9], v[8:9], v[12:13]
	v_add_f64 v[4:5], v[4:5], v[8:9]
	v_fma_f64 v[0:1], v[254:255], s[30:31], -v[0:1]
	v_add_f64 v[2:3], v[2:3], v[4:5]
	v_fmac_f64_e32 v[172:173], s[18:19], v[202:203]
	v_add_f64 v[2:3], v[0:1], v[2:3]
	v_fmac_f64_e32 v[168:169], s[28:29], v[204:205]
	v_add_f64 v[0:1], v[120:121], v[172:173]
	v_fmac_f64_e32 v[164:165], s[36:37], v[208:209]
	v_add_f64 v[0:1], v[168:169], v[0:1]
	v_fmac_f64_e32 v[160:161], s[24:25], v[214:215]
	v_add_f64 v[0:1], v[164:165], v[0:1]
	s_mov_b32 s55, 0x3feec746
	s_mov_b32 s54, s38
	v_mul_f64 v[164:165], v[220:221], s[34:35]
	v_add_f64 v[0:1], v[160:161], v[0:1]
	v_mul_f64 v[154:155], v[228:229], s[54:55]
	v_fma_f64 v[160:161], s[24:25], v[206:207], v[164:165]
	v_fmac_f64_e32 v[26:27], s[6:7], v[222:223]
	v_mul_f64 v[24:25], v[236:237], s[44:45]
	v_fma_f64 v[156:157], s[30:31], v[212:213], v[154:155]
	v_add_f64 v[160:161], v[122:123], v[160:161]
	v_mul_f64 v[178:179], v[210:211], s[34:35]
	v_add_f64 v[0:1], v[26:27], v[0:1]
	v_mul_f64 v[20:21], v[244:245], s[26:27]
	v_fma_f64 v[26:27], s[6:7], v[216:217], v[24:25]
	v_add_f64 v[156:157], v[156:157], v[160:161]
	v_mul_f64 v[174:175], v[218:219], s[54:55]
	v_fma_f64 v[180:181], v[202:203], s[24:25], -v[178:179]
	v_fmac_f64_e32 v[18:19], s[0:1], v[230:231]
	s_mov_b32 s51, 0xbfe58eea
	s_mov_b32 s50, s48
	v_mul_f64 v[16:17], v[252:253], s[58:59]
	v_fma_f64 v[22:23], s[18:19], v[224:225], v[20:21]
	v_add_f64 v[26:27], v[26:27], v[156:157]
	v_mul_f64 v[170:171], v[226:227], s[44:45]
	v_fma_f64 v[176:177], v[204:205], s[30:31], -v[174:175]
	v_add_f64 v[180:181], v[120:121], v[180:181]
	v_add_f64 v[0:1], v[18:19], v[0:1]
	v_mul_f64 v[12:13], v[150:151], s[50:51]
	v_fma_f64 v[18:19], s[36:37], v[232:233], v[16:17]
	v_add_f64 v[22:23], v[22:23], v[26:27]
	v_mul_f64 v[168:169], v[234:235], s[26:27]
	v_fma_f64 v[172:173], v[208:209], s[6:7], -v[170:171]
	v_add_f64 v[176:177], v[176:177], v[180:181]
	v_fmac_f64_e32 v[10:11], s[22:23], v[240:241]
	v_mul_f64 v[8:9], v[200:201], s[20:21]
	v_fma_f64 v[14:15], s[22:23], v[238:239], v[12:13]
	v_add_f64 v[18:19], v[18:19], v[22:23]
	v_mul_f64 v[156:157], v[242:243], s[58:59]
	v_fma_f64 v[166:167], v[214:215], s[18:19], -v[168:169]
	v_add_f64 v[172:173], v[172:173], v[176:177]
	v_fmac_f64_e32 v[6:7], s[30:31], v[248:249]
	v_add_f64 v[0:1], v[10:11], v[0:1]
	v_mul_f64 v[4:5], v[152:153], s[42:43]
	v_fma_f64 v[10:11], s[0:1], v[246:247], v[8:9]
	v_add_f64 v[14:15], v[14:15], v[18:19]
	v_mul_f64 v[22:23], v[250:251], s[50:51]
	v_fma_f64 v[160:161], v[222:223], s[36:37], -v[156:157]
	v_add_f64 v[166:167], v[166:167], v[172:173]
	v_add_f64 v[0:1], v[6:7], v[0:1]
	v_fma_f64 v[6:7], s[28:29], v[254:255], v[4:5]
	v_add_f64 v[10:11], v[10:11], v[14:15]
	v_mul_f64 v[14:15], v[148:149], s[20:21]
	v_fma_f64 v[26:27], v[230:231], s[22:23], -v[22:23]
	v_add_f64 v[160:161], v[160:161], v[166:167]
	v_add_f64 v[162:163], v[6:7], v[10:11]
	v_mul_f64 v[6:7], v[198:199], s[42:43]
	v_fma_f64 v[18:19], v[240:241], s[0:1], -v[14:15]
	v_add_f64 v[26:27], v[26:27], v[160:161]
	v_fma_f64 v[10:11], v[248:249], s[28:29], -v[6:7]
	v_add_f64 v[18:19], v[18:19], v[26:27]
	v_add_f64 v[160:161], v[10:11], v[18:19]
	v_fma_f64 v[18:19], v[216:217], s[6:7], -v[24:25]
	v_fma_f64 v[24:25], v[206:207], s[24:25], -v[164:165]
	;; [unrolled: 1-line block ×6, first 2 shown]
	v_add_f64 v[24:25], v[122:123], v[24:25]
	v_add_f64 v[20:21], v[20:21], v[24:25]
	;; [unrolled: 1-line block ×5, first 2 shown]
	v_fma_f64 v[8:9], v[246:247], s[0:1], -v[8:9]
	v_add_f64 v[10:11], v[10:11], v[12:13]
	v_fma_f64 v[4:5], v[254:255], s[28:29], -v[4:5]
	v_add_f64 v[8:9], v[8:9], v[10:11]
	v_fmac_f64_e32 v[178:179], s[24:25], v[202:203]
	v_add_f64 v[166:167], v[4:5], v[8:9]
	v_fmac_f64_e32 v[174:175], s[30:31], v[204:205]
	;; [unrolled: 2-line block ×4, first 2 shown]
	v_add_f64 v[4:5], v[170:171], v[4:5]
	s_mov_b32 s61, 0x3fe0d888
	s_mov_b32 s60, s26
	v_mul_f64 v[172:173], v[220:221], s[38:39]
	v_fmac_f64_e32 v[156:157], s[36:37], v[222:223]
	v_add_f64 v[4:5], v[168:169], v[4:5]
	v_mul_f64 v[154:155], v[228:229], s[60:61]
	v_fma_f64 v[168:169], s[30:31], v[206:207], v[172:173]
	v_add_f64 v[4:5], v[156:157], v[4:5]
	s_mov_b32 s53, 0xbfeca52d
	s_mov_b32 s52, s42
	v_mul_f64 v[24:25], v[236:237], s[48:49]
	v_fma_f64 v[156:157], s[18:19], v[212:213], v[154:155]
	v_add_f64 v[168:169], v[122:123], v[168:169]
	v_mul_f64 v[186:187], v[210:211], s[38:39]
	v_fmac_f64_e32 v[22:23], s[22:23], v[230:231]
	v_mul_f64 v[20:21], v[244:245], s[52:53]
	v_fma_f64 v[26:27], s[22:23], v[216:217], v[24:25]
	v_add_f64 v[156:157], v[156:157], v[168:169]
	v_mul_f64 v[182:183], v[218:219], s[60:61]
	v_fma_f64 v[188:189], v[202:203], s[30:31], -v[186:187]
	v_add_f64 v[4:5], v[22:23], v[4:5]
	v_mul_f64 v[16:17], v[252:253], s[20:21]
	v_fma_f64 v[22:23], s[28:29], v[224:225], v[20:21]
	v_add_f64 v[26:27], v[26:27], v[156:157]
	v_mul_f64 v[178:179], v[226:227], s[48:49]
	v_fma_f64 v[184:185], v[204:205], s[18:19], -v[182:183]
	v_add_f64 v[188:189], v[120:121], v[188:189]
	v_fmac_f64_e32 v[14:15], s[0:1], v[240:241]
	v_mul_f64 v[12:13], v[150:151], s[58:59]
	v_fma_f64 v[18:19], s[0:1], v[232:233], v[16:17]
	v_add_f64 v[22:23], v[22:23], v[26:27]
	v_mul_f64 v[176:177], v[234:235], s[52:53]
	v_fma_f64 v[180:181], v[208:209], s[22:23], -v[178:179]
	v_add_f64 v[184:185], v[184:185], v[188:189]
	v_fmac_f64_e32 v[6:7], s[28:29], v[248:249]
	v_add_f64 v[4:5], v[14:15], v[4:5]
	v_mul_f64 v[8:9], v[200:201], s[44:45]
	v_fma_f64 v[14:15], s[36:37], v[238:239], v[12:13]
	v_add_f64 v[18:19], v[18:19], v[22:23]
	v_mul_f64 v[156:157], v[242:243], s[20:21]
	v_fma_f64 v[174:175], v[214:215], s[28:29], -v[176:177]
	v_add_f64 v[180:181], v[180:181], v[184:185]
	v_add_f64 v[164:165], v[6:7], v[4:5]
	v_mul_f64 v[4:5], v[152:153], s[34:35]
	v_fma_f64 v[10:11], s[6:7], v[246:247], v[8:9]
	v_add_f64 v[14:15], v[14:15], v[18:19]
	v_mul_f64 v[22:23], v[250:251], s[58:59]
	v_fma_f64 v[168:169], v[222:223], s[0:1], -v[156:157]
	v_add_f64 v[174:175], v[174:175], v[180:181]
	v_fma_f64 v[6:7], s[24:25], v[254:255], v[4:5]
	v_add_f64 v[10:11], v[10:11], v[14:15]
	v_mul_f64 v[14:15], v[148:149], s[44:45]
	v_fma_f64 v[26:27], v[230:231], s[36:37], -v[22:23]
	v_add_f64 v[168:169], v[168:169], v[174:175]
	v_add_f64 v[170:171], v[6:7], v[10:11]
	v_mul_f64 v[6:7], v[198:199], s[34:35]
	v_fma_f64 v[18:19], v[240:241], s[6:7], -v[14:15]
	v_add_f64 v[26:27], v[26:27], v[168:169]
	v_fma_f64 v[10:11], v[248:249], s[24:25], -v[6:7]
	v_add_f64 v[18:19], v[18:19], v[26:27]
	v_add_f64 v[168:169], v[10:11], v[18:19]
	v_fma_f64 v[18:19], v[216:217], s[22:23], -v[24:25]
	v_fma_f64 v[24:25], v[206:207], s[30:31], -v[172:173]
	;; [unrolled: 1-line block ×6, first 2 shown]
	v_add_f64 v[24:25], v[122:123], v[24:25]
	v_add_f64 v[20:21], v[20:21], v[24:25]
	;; [unrolled: 1-line block ×5, first 2 shown]
	v_fma_f64 v[8:9], v[246:247], s[6:7], -v[8:9]
	v_add_f64 v[10:11], v[10:11], v[12:13]
	v_fma_f64 v[4:5], v[254:255], s[24:25], -v[4:5]
	v_add_f64 v[8:9], v[8:9], v[10:11]
	v_fmac_f64_e32 v[186:187], s[30:31], v[202:203]
	v_add_f64 v[174:175], v[4:5], v[8:9]
	v_fmac_f64_e32 v[182:183], s[18:19], v[204:205]
	;; [unrolled: 2-line block ×4, first 2 shown]
	v_add_f64 v[4:5], v[178:179], v[4:5]
	v_mul_f64 v[180:181], v[220:221], s[46:47]
	v_fmac_f64_e32 v[156:157], s[0:1], v[222:223]
	v_add_f64 v[4:5], v[176:177], v[4:5]
	v_mul_f64 v[154:155], v[228:229], s[20:21]
	v_fma_f64 v[176:177], s[36:37], v[206:207], v[180:181]
	v_accvgpr_write_b32 a32, v192
	v_accvgpr_write_b32 a63, v3
	v_add_f64 v[4:5], v[156:157], v[4:5]
	v_mul_f64 v[24:25], v[236:237], s[54:55]
	v_fma_f64 v[156:157], s[0:1], v[212:213], v[154:155]
	v_add_f64 v[176:177], v[122:123], v[176:177]
	v_accvgpr_write_b32 a33, v193
	v_accvgpr_write_b32 a34, v194
	;; [unrolled: 1-line block ×3, first 2 shown]
	v_mul_f64 v[194:195], v[210:211], s[46:47]
	v_accvgpr_write_b32 a62, v2
	v_accvgpr_write_b32 a61, v1
	;; [unrolled: 1-line block ×3, first 2 shown]
	v_fmac_f64_e32 v[22:23], s[36:37], v[230:231]
	v_mul_f64 v[20:21], v[244:245], s[40:41]
	v_fma_f64 v[26:27], s[30:31], v[216:217], v[24:25]
	v_add_f64 v[156:157], v[156:157], v[176:177]
	v_mul_f64 v[190:191], v[218:219], s[20:21]
	v_fma_f64 v[0:1], v[202:203], s[36:37], -v[194:195]
	v_add_f64 v[4:5], v[22:23], v[4:5]
	v_mul_f64 v[16:17], v[252:253], s[52:53]
	v_fma_f64 v[22:23], s[6:7], v[224:225], v[20:21]
	v_add_f64 v[26:27], v[26:27], v[156:157]
	v_mul_f64 v[186:187], v[226:227], s[54:55]
	v_fma_f64 v[192:193], v[204:205], s[0:1], -v[190:191]
	v_add_f64 v[0:1], v[120:121], v[0:1]
	v_fmac_f64_e32 v[14:15], s[6:7], v[240:241]
	v_mul_f64 v[12:13], v[150:151], s[26:27]
	v_fma_f64 v[18:19], s[28:29], v[232:233], v[16:17]
	v_add_f64 v[22:23], v[22:23], v[26:27]
	v_mul_f64 v[184:185], v[234:235], s[40:41]
	v_fma_f64 v[188:189], v[208:209], s[30:31], -v[186:187]
	v_add_f64 v[0:1], v[192:193], v[0:1]
	v_add_f64 v[4:5], v[14:15], v[4:5]
	v_mul_f64 v[8:9], v[200:201], s[56:57]
	v_fma_f64 v[14:15], s[18:19], v[238:239], v[12:13]
	v_add_f64 v[18:19], v[18:19], v[22:23]
	v_mul_f64 v[156:157], v[242:243], s[52:53]
	v_fma_f64 v[182:183], v[214:215], s[6:7], -v[184:185]
	v_add_f64 v[0:1], v[188:189], v[0:1]
	v_fmac_f64_e32 v[6:7], s[24:25], v[248:249]
	v_fma_f64 v[10:11], s[24:25], v[246:247], v[8:9]
	v_add_f64 v[14:15], v[14:15], v[18:19]
	v_mul_f64 v[22:23], v[250:251], s[26:27]
	v_fma_f64 v[176:177], v[222:223], s[28:29], -v[156:157]
	v_add_f64 v[0:1], v[182:183], v[0:1]
	v_add_f64 v[172:173], v[6:7], v[4:5]
	v_mul_f64 v[4:5], v[152:153], s[48:49]
	v_add_f64 v[10:11], v[10:11], v[14:15]
	v_mul_f64 v[14:15], v[148:149], s[56:57]
	v_fma_f64 v[26:27], v[230:231], s[18:19], -v[22:23]
	v_add_f64 v[0:1], v[176:177], v[0:1]
	v_fma_f64 v[6:7], s[22:23], v[254:255], v[4:5]
	v_fma_f64 v[18:19], v[240:241], s[24:25], -v[14:15]
	v_add_f64 v[0:1], v[26:27], v[0:1]
	v_add_f64 v[178:179], v[6:7], v[10:11]
	v_mul_f64 v[6:7], v[198:199], s[48:49]
	v_add_f64 v[0:1], v[18:19], v[0:1]
	v_fma_f64 v[18:19], v[206:207], s[36:37], -v[180:181]
	v_fma_f64 v[10:11], v[248:249], s[22:23], -v[6:7]
	;; [unrolled: 1-line block ×5, first 2 shown]
	v_add_f64 v[18:19], v[122:123], v[18:19]
	v_add_f64 v[176:177], v[10:11], v[0:1]
	v_fma_f64 v[0:1], v[254:255], s[22:23], -v[4:5]
	v_fma_f64 v[4:5], v[238:239], s[18:19], -v[12:13]
	;; [unrolled: 1-line block ×3, first 2 shown]
	v_add_f64 v[16:17], v[16:17], v[18:19]
	v_fma_f64 v[10:11], v[224:225], s[6:7], -v[20:21]
	v_add_f64 v[12:13], v[12:13], v[16:17]
	v_add_f64 v[10:11], v[10:11], v[12:13]
	;; [unrolled: 1-line block ×5, first 2 shown]
	v_fmac_f64_e32 v[194:195], s[36:37], v[202:203]
	v_add_f64 v[182:183], v[0:1], v[2:3]
	v_fmac_f64_e32 v[190:191], s[0:1], v[204:205]
	v_add_f64 v[0:1], v[120:121], v[194:195]
	;; [unrolled: 2-line block ×4, first 2 shown]
	v_accvgpr_write_b32 a40, v70
	v_fmac_f64_e32 v[156:157], s[28:29], v[222:223]
	v_add_f64 v[0:1], v[184:185], v[0:1]
	v_mul_f64 v[154:155], v[220:221], s[52:53]
	v_accvgpr_write_b32 a41, v71
	v_accvgpr_write_b32 a42, v72
	;; [unrolled: 1-line block ×3, first 2 shown]
	v_mov_b64_e32 v[74:75], v[48:49]
	v_accvgpr_write_b32 a36, v66
	v_add_f64 v[0:1], v[156:157], v[0:1]
	s_mov_b32 s57, 0x3fc7851a
	s_mov_b32 s56, s20
	v_mul_f64 v[24:25], v[228:229], s[34:35]
	v_fma_f64 v[156:157], s[28:29], v[206:207], v[154:155]
	v_mov_b64_e32 v[72:73], v[46:47]
	v_mov_b32_e32 v48, v64
	v_accvgpr_write_b32 a37, v67
	v_accvgpr_write_b32 a38, v68
	v_accvgpr_write_b32 a39, v69
	v_mov_b32_e32 v49, v65
	v_mov_b64_e32 v[66:67], v[40:41]
	v_mov_b64_e32 v[70:71], v[44:45]
	v_accvgpr_write_b32 a56, v58
	v_fmac_f64_e32 v[22:23], s[18:19], v[230:231]
	v_mul_f64 v[20:21], v[236:237], s[56:57]
	v_fma_f64 v[26:27], s[24:25], v[212:213], v[24:25]
	v_add_f64 v[156:157], v[122:123], v[156:157]
	v_mul_f64 v[28:29], v[210:211], s[52:53]
	v_mov_b64_e32 v[64:65], v[38:39]
	v_mov_b64_e32 v[68:69], v[42:43]
	;; [unrolled: 1-line block ×3, first 2 shown]
	v_accvgpr_write_b32 a57, v59
	v_accvgpr_write_b32 a58, v60
	;; [unrolled: 1-line block ×3, first 2 shown]
	v_add_f64 v[0:1], v[22:23], v[0:1]
	v_mul_f64 v[16:17], v[244:245], s[54:55]
	v_fma_f64 v[22:23], s[0:1], v[216:217], v[20:21]
	v_add_f64 v[26:27], v[26:27], v[156:157]
	v_mul_f64 v[60:61], v[218:219], s[34:35]
	v_mov_b64_e32 v[40:41], v[30:31]
	v_fma_f64 v[30:31], v[202:203], s[28:29], -v[28:29]
	v_fmac_f64_e32 v[14:15], s[24:25], v[240:241]
	v_mul_f64 v[12:13], v[252:253], s[48:49]
	v_fma_f64 v[18:19], s[30:31], v[224:225], v[16:17]
	v_add_f64 v[22:23], v[22:23], v[26:27]
	v_mul_f64 v[190:191], v[226:227], s[56:57]
	v_fma_f64 v[62:63], v[204:205], s[24:25], -v[60:61]
	v_add_f64 v[30:31], v[120:121], v[30:31]
	v_add_f64 v[0:1], v[14:15], v[0:1]
	v_mul_f64 v[8:9], v[150:151], s[44:45]
	v_fma_f64 v[14:15], s[22:23], v[232:233], v[12:13]
	v_add_f64 v[18:19], v[18:19], v[22:23]
	v_mul_f64 v[188:189], v[234:235], s[54:55]
	v_fma_f64 v[192:193], v[208:209], s[0:1], -v[190:191]
	v_add_f64 v[30:31], v[62:63], v[30:31]
	v_fmac_f64_e32 v[6:7], s[22:23], v[248:249]
	v_mul_f64 v[4:5], v[200:201], s[46:47]
	v_fma_f64 v[10:11], s[6:7], v[238:239], v[8:9]
	v_add_f64 v[14:15], v[14:15], v[18:19]
	v_mul_f64 v[26:27], v[242:243], s[48:49]
	v_fma_f64 v[184:185], v[214:215], s[30:31], -v[188:189]
	v_add_f64 v[30:31], v[192:193], v[30:31]
	v_add_f64 v[180:181], v[6:7], v[0:1]
	v_mul_f64 v[0:1], v[152:153], s[26:27]
	v_fma_f64 v[6:7], s[36:37], v[246:247], v[4:5]
	v_add_f64 v[10:11], v[10:11], v[14:15]
	v_mul_f64 v[18:19], v[250:251], s[44:45]
	v_fma_f64 v[156:157], v[222:223], s[22:23], -v[26:27]
	v_add_f64 v[30:31], v[184:185], v[30:31]
	v_fma_f64 v[2:3], s[18:19], v[254:255], v[0:1]
	v_add_f64 v[6:7], v[6:7], v[10:11]
	v_mul_f64 v[10:11], v[148:149], s[46:47]
	v_fma_f64 v[22:23], v[230:231], s[6:7], -v[18:19]
	v_add_f64 v[30:31], v[156:157], v[30:31]
	v_add_f64 v[186:187], v[2:3], v[6:7]
	v_mul_f64 v[2:3], v[198:199], s[26:27]
	v_fma_f64 v[14:15], v[240:241], s[36:37], -v[10:11]
	v_add_f64 v[22:23], v[22:23], v[30:31]
	v_fma_f64 v[6:7], v[248:249], s[18:19], -v[2:3]
	v_add_f64 v[14:15], v[14:15], v[22:23]
	v_add_f64 v[184:185], v[6:7], v[14:15]
	v_fma_f64 v[14:15], v[216:217], s[0:1], -v[20:21]
	v_fma_f64 v[20:21], v[206:207], s[28:29], -v[154:155]
	;; [unrolled: 1-line block ×6, first 2 shown]
	v_add_f64 v[20:21], v[122:123], v[20:21]
	v_add_f64 v[16:17], v[16:17], v[20:21]
	;; [unrolled: 1-line block ×5, first 2 shown]
	v_fma_f64 v[4:5], v[246:247], s[36:37], -v[4:5]
	v_add_f64 v[6:7], v[6:7], v[8:9]
	v_fma_f64 v[0:1], v[254:255], s[18:19], -v[0:1]
	v_add_f64 v[4:5], v[4:5], v[6:7]
	v_fmac_f64_e32 v[28:29], s[28:29], v[202:203]
	v_add_f64 v[194:195], v[0:1], v[4:5]
	v_fmac_f64_e32 v[60:61], s[24:25], v[204:205]
	;; [unrolled: 2-line block ×4, first 2 shown]
	v_add_f64 v[0:1], v[190:191], v[0:1]
	v_mul_f64 v[28:29], v[220:221], s[50:51]
	v_fmac_f64_e32 v[26:27], s[22:23], v[222:223]
	v_add_f64 v[0:1], v[188:189], v[0:1]
	v_mul_f64 v[24:25], v[228:229], s[46:47]
	v_fma_f64 v[30:31], s[22:23], v[206:207], v[28:29]
	v_mov_b64_e32 v[46:47], v[36:37]
	v_add_f64 v[0:1], v[26:27], v[0:1]
	v_mul_f64 v[20:21], v[236:237], s[34:35]
	v_fma_f64 v[26:27], s[36:37], v[212:213], v[24:25]
	v_add_f64 v[30:31], v[122:123], v[30:31]
	v_mov_b64_e32 v[44:45], v[34:35]
	v_mul_f64 v[36:37], v[210:211], s[50:51]
	v_fmac_f64_e32 v[18:19], s[6:7], v[230:231]
	v_mul_f64 v[16:17], v[244:245], s[20:21]
	v_fma_f64 v[22:23], s[24:25], v[216:217], v[20:21]
	v_add_f64 v[26:27], v[26:27], v[30:31]
	v_mul_f64 v[32:33], v[218:219], s[46:47]
	v_fma_f64 v[38:39], v[202:203], s[22:23], -v[36:37]
	v_add_f64 v[0:1], v[18:19], v[0:1]
	v_mul_f64 v[12:13], v[252:253], s[60:61]
	v_fma_f64 v[18:19], s[0:1], v[224:225], v[16:17]
	v_add_f64 v[22:23], v[22:23], v[26:27]
	v_mul_f64 v[154:155], v[226:227], s[34:35]
	v_fma_f64 v[34:35], v[204:205], s[36:37], -v[32:33]
	v_add_f64 v[38:39], v[120:121], v[38:39]
	v_fmac_f64_e32 v[10:11], s[36:37], v[240:241]
	v_mul_f64 v[8:9], v[150:151], s[54:55]
	v_fma_f64 v[14:15], s[18:19], v[232:233], v[12:13]
	v_add_f64 v[18:19], v[18:19], v[22:23]
	v_mul_f64 v[60:61], v[234:235], s[20:21]
	v_fma_f64 v[156:157], v[208:209], s[24:25], -v[154:155]
	v_add_f64 v[34:35], v[34:35], v[38:39]
	v_fmac_f64_e32 v[2:3], s[18:19], v[248:249]
	v_add_f64 v[0:1], v[10:11], v[0:1]
	v_mul_f64 v[4:5], v[200:201], s[42:43]
	v_fma_f64 v[10:11], s[30:31], v[238:239], v[8:9]
	v_add_f64 v[14:15], v[14:15], v[18:19]
	v_mul_f64 v[26:27], v[242:243], s[60:61]
	v_fma_f64 v[62:63], v[214:215], s[0:1], -v[60:61]
	v_add_f64 v[34:35], v[156:157], v[34:35]
	v_add_f64 v[192:193], v[2:3], v[0:1]
	v_mul_f64 v[0:1], v[152:153], s[40:41]
	v_fma_f64 v[6:7], s[28:29], v[246:247], v[4:5]
	v_add_f64 v[10:11], v[10:11], v[14:15]
	v_mul_f64 v[18:19], v[250:251], s[54:55]
	v_fma_f64 v[30:31], v[222:223], s[18:19], -v[26:27]
	v_add_f64 v[34:35], v[62:63], v[34:35]
	v_fma_f64 v[2:3], s[6:7], v[254:255], v[0:1]
	v_add_f64 v[6:7], v[6:7], v[10:11]
	v_mul_f64 v[10:11], v[148:149], s[42:43]
	v_fma_f64 v[22:23], v[230:231], s[30:31], -v[18:19]
	v_add_f64 v[30:31], v[30:31], v[34:35]
	v_add_f64 v[190:191], v[2:3], v[6:7]
	v_mul_f64 v[2:3], v[198:199], s[40:41]
	v_fma_f64 v[14:15], v[240:241], s[28:29], -v[10:11]
	v_add_f64 v[22:23], v[22:23], v[30:31]
	v_fma_f64 v[6:7], v[248:249], s[6:7], -v[2:3]
	v_add_f64 v[14:15], v[14:15], v[22:23]
	v_add_f64 v[188:189], v[6:7], v[14:15]
	v_fma_f64 v[14:15], v[216:217], s[24:25], -v[20:21]
	v_fma_f64 v[20:21], v[206:207], s[22:23], -v[28:29]
	;; [unrolled: 1-line block ×6, first 2 shown]
	v_add_f64 v[20:21], v[122:123], v[20:21]
	v_add_f64 v[16:17], v[16:17], v[20:21]
	;; [unrolled: 1-line block ×5, first 2 shown]
	v_fma_f64 v[4:5], v[246:247], s[28:29], -v[4:5]
	v_add_f64 v[6:7], v[6:7], v[8:9]
	v_fma_f64 v[0:1], v[254:255], s[6:7], -v[0:1]
	v_add_f64 v[4:5], v[4:5], v[6:7]
	v_fmac_f64_e32 v[36:37], s[22:23], v[202:203]
	v_add_f64 v[6:7], v[0:1], v[4:5]
	v_fmac_f64_e32 v[32:33], s[36:37], v[204:205]
	;; [unrolled: 2-line block ×3, first 2 shown]
	v_add_f64 v[0:1], v[32:33], v[0:1]
	v_mul_f64 v[32:33], v[220:221], s[44:45]
	v_fmac_f64_e32 v[60:61], s[0:1], v[214:215]
	v_add_f64 v[0:1], v[154:155], v[0:1]
	v_mul_f64 v[28:29], v[228:229], s[50:51]
	v_fma_f64 v[34:35], s[6:7], v[206:207], v[32:33]
	v_fmac_f64_e32 v[26:27], s[18:19], v[222:223]
	v_add_f64 v[0:1], v[60:61], v[0:1]
	v_mul_f64 v[24:25], v[236:237], s[52:53]
	v_fma_f64 v[30:31], s[22:23], v[212:213], v[28:29]
	v_add_f64 v[34:35], v[122:123], v[34:35]
	v_fmac_f64_e32 v[18:19], s[30:31], v[230:231]
	v_add_f64 v[0:1], v[26:27], v[0:1]
	v_mul_f64 v[20:21], v[244:245], s[46:47]
	v_fma_f64 v[26:27], s[28:29], v[216:217], v[24:25]
	v_add_f64 v[30:31], v[30:31], v[34:35]
	;; [unrolled: 5-line block ×3, first 2 shown]
	v_mul_f64 v[154:155], v[210:211], s[44:45]
	v_fmac_f64_e32 v[2:3], s[6:7], v[248:249]
	v_add_f64 v[0:1], v[10:11], v[0:1]
	v_mul_f64 v[14:15], v[150:151], s[34:35]
	v_fma_f64 v[18:19], s[30:31], v[232:233], v[16:17]
	v_add_f64 v[22:23], v[22:23], v[26:27]
	v_mul_f64 v[150:151], v[218:219], s[50:51]
	v_fma_f64 v[156:157], v[202:203], s[6:7], -v[154:155]
	v_add_f64 v[4:5], v[2:3], v[0:1]
	v_mul_f64 v[0:1], v[152:153], s[20:21]
	v_fma_f64 v[10:11], s[24:25], v[238:239], v[14:15]
	v_add_f64 v[18:19], v[18:19], v[22:23]
	v_mul_f64 v[62:63], v[226:227], s[52:53]
	v_fma_f64 v[152:153], v[204:205], s[22:23], -v[150:151]
	v_add_f64 v[156:157], v[120:121], v[156:157]
	v_add_f64 v[10:11], v[10:11], v[18:19]
	v_mul_f64 v[18:19], v[148:149], s[26:27]
	v_mul_f64 v[38:39], v[234:235], s[46:47]
	v_fma_f64 v[148:149], v[208:209], s[28:29], -v[62:63]
	v_add_f64 v[152:153], v[152:153], v[156:157]
	v_mul_f64 v[12:13], v[200:201], s[26:27]
	v_mul_f64 v[34:35], v[242:243], s[38:39]
	v_fma_f64 v[60:61], v[214:215], s[36:37], -v[38:39]
	v_add_f64 v[148:149], v[148:149], v[152:153]
	v_fma_f64 v[8:9], s[18:19], v[246:247], v[12:13]
	v_mul_f64 v[26:27], v[250:251], s[34:35]
	v_fma_f64 v[36:37], v[222:223], s[30:31], -v[34:35]
	v_add_f64 v[60:61], v[60:61], v[148:149]
	v_fma_f64 v[2:3], s[0:1], v[254:255], v[0:1]
	v_add_f64 v[8:9], v[8:9], v[10:11]
	v_fma_f64 v[30:31], v[230:231], s[24:25], -v[26:27]
	v_add_f64 v[36:37], v[36:37], v[60:61]
	v_add_f64 v[10:11], v[2:3], v[8:9]
	v_mul_f64 v[2:3], v[198:199], s[20:21]
	v_fma_f64 v[22:23], v[240:241], s[18:19], -v[18:19]
	v_add_f64 v[30:31], v[30:31], v[36:37]
	v_fma_f64 v[8:9], v[248:249], s[0:1], -v[2:3]
	v_add_f64 v[22:23], v[22:23], v[30:31]
	v_add_f64 v[8:9], v[8:9], v[22:23]
	v_fma_f64 v[22:23], v[216:217], s[28:29], -v[24:25]
	v_fma_f64 v[24:25], v[212:213], s[22:23], -v[28:29]
	;; [unrolled: 1-line block ×3, first 2 shown]
	v_add_f64 v[28:29], v[122:123], v[28:29]
	v_add_f64 v[24:25], v[24:25], v[28:29]
	v_fma_f64 v[20:21], v[224:225], s[36:37], -v[20:21]
	v_add_f64 v[22:23], v[22:23], v[24:25]
	v_fma_f64 v[16:17], v[232:233], s[30:31], -v[16:17]
	;; [unrolled: 2-line block ×5, first 2 shown]
	v_add_f64 v[12:13], v[12:13], v[14:15]
	v_fmac_f64_e32 v[154:155], s[6:7], v[202:203]
	v_add_f64 v[14:15], v[0:1], v[12:13]
	v_fmac_f64_e32 v[150:151], s[22:23], v[204:205]
	;; [unrolled: 2-line block ×8, first 2 shown]
	v_add_f64 v[0:1], v[18:19], v[0:1]
	v_add_f64 v[12:13], v[2:3], v[0:1]
	;; [unrolled: 1-line block ×34, first 2 shown]
	v_accvgpr_read_b32 v0, a3
	v_lshlrev_b32_e32 v0, 4, v0
	v_accvgpr_read_b32 v73, a43
	v_accvgpr_read_b32 v69, a39
	ds_write_b128 v0, v[16:19]
	ds_write_b128 v0, v[12:15] offset:16
	ds_write_b128 v0, v[4:7] offset:32
	;; [unrolled: 1-line block ×3, first 2 shown]
	v_accvgpr_read_b32 v195, a35
	ds_write_b128 v0, v[180:183] offset:64
	v_accvgpr_read_b32 v183, a23
	ds_write_b128 v0, v[172:175] offset:80
	;; [unrolled: 2-line block ×4, first 2 shown]
	ds_write_b128 v0, a[52:55] offset:128
	ds_write_b128 v0, v[144:147] offset:144
	;; [unrolled: 1-line block ×5, first 2 shown]
	v_accvgpr_read_b32 v171, a11
	ds_write_b128 v0, v[176:179] offset:208
	v_accvgpr_read_b32 v179, a19
	ds_write_b128 v0, v[184:187] offset:224
	;; [unrolled: 2-line block ×3, first 2 shown]
	v_accvgpr_read_b32 v191, a31
	v_accvgpr_read_b32 v72, a42
	v_accvgpr_read_b32 v71, a41
	v_accvgpr_read_b32 v70, a40
	v_accvgpr_read_b32 v68, a38
	v_accvgpr_read_b32 v67, a37
	v_accvgpr_read_b32 v66, a36
	v_mov_b32_e32 v65, v49
	v_mov_b32_e32 v64, v48
	v_accvgpr_read_b32 v194, a34
	v_accvgpr_read_b32 v193, a33
	;; [unrolled: 1-line block ×25, first 2 shown]
	ds_write_b128 v0, v[8:11] offset:256
.LBB0_17:
	s_or_b64 exec, exec, s[16:17]
	s_waitcnt lgkmcnt(0)
	s_barrier
	ds_read_b128 v[4:7], v196
	ds_read_b128 v[0:3], v196 offset:1632
	ds_read_b128 v[8:11], v196 offset:3264
	;; [unrolled: 1-line block ×8, first 2 shown]
	s_waitcnt lgkmcnt(7)
	v_mul_f64 v[28:29], v[178:179], v[2:3]
	v_fmac_f64_e32 v[28:29], v[176:177], v[0:1]
	v_mul_f64 v[0:1], v[178:179], v[0:1]
	v_fma_f64 v[0:1], v[176:177], v[2:3], -v[0:1]
	s_waitcnt lgkmcnt(6)
	v_mul_f64 v[2:3], v[174:175], v[10:11]
	v_fmac_f64_e32 v[2:3], v[172:173], v[8:9]
	v_mul_f64 v[8:9], v[174:175], v[8:9]
	v_fma_f64 v[8:9], v[172:173], v[10:11], -v[8:9]
	;; [unrolled: 5-line block ×3, first 2 shown]
	s_waitcnt lgkmcnt(4)
	v_mul_f64 v[14:15], v[166:167], v[16:17]
	v_fma_f64 v[32:33], v[164:165], v[18:19], -v[14:15]
	s_waitcnt lgkmcnt(3)
	v_mul_f64 v[14:15], v[194:195], v[20:21]
	v_mul_f64 v[30:31], v[166:167], v[18:19]
	v_fma_f64 v[36:37], v[192:193], v[22:23], -v[14:15]
	s_waitcnt lgkmcnt(2)
	v_mul_f64 v[14:15], v[190:191], v[26:27]
	v_fmac_f64_e32 v[30:31], v[164:165], v[16:17]
	v_mul_f64 v[34:35], v[194:195], v[22:23]
	v_fmac_f64_e32 v[14:15], v[188:189], v[24:25]
	v_mul_f64 v[16:17], v[190:191], v[24:25]
	s_waitcnt lgkmcnt(0)
	v_mul_f64 v[22:23], v[182:183], v[110:111]
	v_mul_f64 v[24:25], v[182:183], v[108:109]
	v_fmac_f64_e32 v[34:35], v[192:193], v[20:21]
	v_mul_f64 v[18:19], v[186:187], v[106:107]
	v_mul_f64 v[20:21], v[186:187], v[104:105]
	v_fmac_f64_e32 v[22:23], v[180:181], v[108:109]
	v_fma_f64 v[24:25], v[180:181], v[110:111], -v[24:25]
	s_mov_b32 s18, 0xa2cf5039
	v_fmac_f64_e32 v[18:19], v[184:185], v[104:105]
	v_fma_f64 v[20:21], v[184:185], v[106:107], -v[20:21]
	v_add_f64 v[38:39], v[28:29], v[22:23]
	v_add_f64 v[50:51], v[0:1], -v[24:25]
	s_mov_b32 s1, 0x3fe491b7
	s_mov_b32 s0, 0x523c161c
	;; [unrolled: 1-line block ×5, first 2 shown]
	v_fma_f64 v[16:17], v[188:189], v[26:27], -v[16:17]
	v_add_f64 v[40:41], v[0:1], v[24:25]
	v_add_f64 v[42:43], v[2:3], v[18:19]
	v_add_f64 v[28:29], v[28:29], -v[22:23]
	v_add_f64 v[52:53], v[2:3], -v[18:19]
	v_add_f64 v[54:55], v[8:9], -v[20:21]
	v_mul_f64 v[2:3], v[50:51], s[0:1]
	s_mov_b32 s7, 0x3fef838b
	s_mov_b32 s16, 0xe8584cab
	v_fma_f64 v[0:1], s[18:19], v[38:39], v[4:5]
	s_mov_b32 s21, 0x3fc63a1a
	v_add_f64 v[44:45], v[8:9], v[20:21]
	v_add_f64 v[46:47], v[10:11], v[14:15]
	;; [unrolled: 1-line block ×3, first 2 shown]
	v_add_f64 v[56:57], v[10:11], -v[14:15]
	v_add_f64 v[58:59], v[12:13], -v[16:17]
	v_mul_f64 v[12:13], v[28:29], s[0:1]
	v_fmac_f64_e32 v[2:3], s[6:7], v[54:55]
	s_mov_b32 s17, 0x3febb67a
	s_mov_b32 s22, 0x748a0bf8
	v_fma_f64 v[10:11], s[18:19], v[40:41], v[6:7]
	v_fmac_f64_e32 v[0:1], s[20:21], v[42:43]
	s_mov_b32 s24, 0x42522d1b
	v_fmac_f64_e32 v[12:13], s[6:7], v[52:53]
	v_fmac_f64_e32 v[2:3], s[16:17], v[58:59]
	v_add_f64 v[62:63], v[32:33], -v[36:37]
	s_mov_b32 s23, 0x3fd5e3a8
	v_fmac_f64_e32 v[10:11], s[20:21], v[44:45]
	v_fmac_f64_e32 v[0:1], -0.5, v[46:47]
	v_add_f64 v[104:105], v[30:31], v[34:35]
	s_mov_b32 s25, 0xbfee11f6
	v_fmac_f64_e32 v[12:13], s[16:17], v[56:57]
	v_add_f64 v[60:61], v[30:31], -v[34:35]
	v_fmac_f64_e32 v[2:3], s[22:23], v[62:63]
	v_fmac_f64_e32 v[10:11], -0.5, v[48:49]
	v_add_f64 v[106:107], v[32:33], v[36:37]
	v_fmac_f64_e32 v[0:1], s[24:25], v[104:105]
	v_fmac_f64_e32 v[12:13], s[22:23], v[60:61]
	;; [unrolled: 1-line block ×3, first 2 shown]
	v_add_f64 v[8:9], v[0:1], -v[2:3]
	v_add_f64 v[10:11], v[12:13], v[10:11]
	v_mov_b64_e32 v[0:1], v[8:9]
	v_fmac_f64_e32 v[0:1], 2.0, v[2:3]
	v_mov_b64_e32 v[2:3], v[10:11]
	s_mov_b32 s1, 0xbfe491b7
	v_fmac_f64_e32 v[2:3], -2.0, v[12:13]
	v_mul_f64 v[18:19], v[62:63], s[0:1]
	v_fma_f64 v[12:13], s[18:19], v[104:105], v[4:5]
	v_mul_f64 v[20:21], v[60:61], s[0:1]
	v_fmac_f64_e32 v[18:19], s[6:7], v[50:51]
	s_mov_b32 s27, 0xbfebb67a
	s_mov_b32 s26, s16
	v_fma_f64 v[14:15], s[18:19], v[106:107], v[6:7]
	v_fmac_f64_e32 v[12:13], s[20:21], v[38:39]
	v_fmac_f64_e32 v[20:21], s[6:7], v[28:29]
	v_fmac_f64_e32 v[18:19], s[26:27], v[58:59]
	v_fmac_f64_e32 v[14:15], s[20:21], v[40:41]
	v_fmac_f64_e32 v[12:13], -0.5, v[46:47]
	v_fmac_f64_e32 v[20:21], s[26:27], v[56:57]
	v_fmac_f64_e32 v[18:19], s[22:23], v[54:55]
	v_fmac_f64_e32 v[14:15], -0.5, v[48:49]
	v_fmac_f64_e32 v[12:13], s[24:25], v[42:43]
	v_fmac_f64_e32 v[20:21], s[22:23], v[52:53]
	;; [unrolled: 1-line block ×3, first 2 shown]
	v_add_f64 v[12:13], v[12:13], -v[18:19]
	v_add_f64 v[14:15], v[20:21], v[14:15]
	v_mov_b64_e32 v[16:17], v[12:13]
	v_fmac_f64_e32 v[16:17], 2.0, v[18:19]
	v_mov_b64_e32 v[18:19], v[14:15]
	v_fmac_f64_e32 v[18:19], -2.0, v[20:21]
	v_add_f64 v[20:21], v[60:61], v[28:29]
	v_add_f64 v[22:23], v[62:63], v[50:51]
	v_mul_f64 v[60:61], v[60:61], s[6:7]
	v_mul_f64 v[62:63], v[62:63], s[6:7]
	v_add_f64 v[24:25], v[20:21], -v[52:53]
	v_add_f64 v[26:27], v[22:23], -v[54:55]
	v_fma_f64 v[52:53], v[52:53], s[0:1], -v[60:61]
	v_fma_f64 v[54:55], v[54:55], s[0:1], -v[62:63]
	v_add_f64 v[112:113], v[42:43], v[38:39]
	v_add_f64 v[114:115], v[44:45], v[40:41]
	v_fmac_f64_e32 v[52:53], s[16:17], v[56:57]
	v_fmac_f64_e32 v[54:55], s[16:17], v[58:59]
	;; [unrolled: 1-line block ×4, first 2 shown]
	v_add_f64 v[28:29], v[46:47], v[112:113]
	v_add_f64 v[50:51], v[48:49], v[114:115]
	;; [unrolled: 1-line block ×10, first 2 shown]
	v_fmac_f64_e32 v[4:5], s[18:19], v[42:43]
	v_fmac_f64_e32 v[6:7], s[18:19], v[44:45]
	;; [unrolled: 1-line block ×4, first 2 shown]
	v_add_f64 v[116:117], v[104:105], v[112:113]
	v_add_f64 v[118:119], v[106:107], v[114:115]
	v_fmac_f64_e32 v[4:5], -0.5, v[46:47]
	v_fmac_f64_e32 v[6:7], -0.5, v[48:49]
	;; [unrolled: 1-line block ×4, first 2 shown]
	v_fmac_f64_e32 v[4:5], s[24:25], v[38:39]
	v_fmac_f64_e32 v[6:7], s[24:25], v[40:41]
	;; [unrolled: 1-line block ×4, first 2 shown]
	v_add_f64 v[4:5], v[4:5], -v[54:55]
	v_add_f64 v[6:7], v[52:53], v[6:7]
	v_mul_f64 v[108:109], v[24:25], s[16:17]
	v_mul_f64 v[110:111], v[26:27], s[16:17]
	v_mov_b64_e32 v[24:25], v[20:21]
	v_mov_b64_e32 v[26:27], v[22:23]
	;; [unrolled: 1-line block ×4, first 2 shown]
	v_fmac_f64_e32 v[24:25], 2.0, v[110:111]
	v_fmac_f64_e32 v[26:27], -2.0, v[108:109]
	v_fmac_f64_e32 v[32:33], 2.0, v[54:55]
	v_fmac_f64_e32 v[34:35], -2.0, v[52:53]
	s_barrier
	ds_write_b128 v158, v[28:31]
	ds_write_b128 v158, v[8:11] offset:272
	ds_write_b128 v158, v[12:15] offset:544
	;; [unrolled: 1-line block ×8, first 2 shown]
	s_waitcnt lgkmcnt(0)
	s_barrier
	ds_read_b128 v[16:19], v196
	ds_read_b128 v[12:15], v196 offset:1632
	ds_read_b128 v[32:35], v196 offset:7344
	;; [unrolled: 1-line block ×7, first 2 shown]
	s_and_saveexec_b64 s[0:1], s[2:3]
	s_cbranch_execz .LBB0_19
; %bb.18:
	ds_read_b128 v[0:3], v196 offset:6528
	ds_read_b128 v[144:147], v196 offset:13872
.LBB0_19:
	s_or_b64 exec, exec, s[0:1]
	s_waitcnt lgkmcnt(5)
	v_mul_f64 v[36:37], v[72:73], v[34:35]
	v_fmac_f64_e32 v[36:37], v[70:71], v[32:33]
	v_mul_f64 v[32:33], v[72:73], v[32:33]
	v_fma_f64 v[32:33], v[70:71], v[34:35], -v[32:33]
	s_waitcnt lgkmcnt(4)
	v_mul_f64 v[34:35], v[78:79], v[30:31]
	v_accvgpr_read_b32 v38, a44
	v_fmac_f64_e32 v[34:35], v[76:77], v[28:29]
	v_mul_f64 v[28:29], v[78:79], v[28:29]
	v_accvgpr_read_b32 v40, a46
	v_accvgpr_read_b32 v41, a47
	v_fma_f64 v[28:29], v[76:77], v[30:31], -v[28:29]
	v_accvgpr_read_b32 v39, a45
	s_waitcnt lgkmcnt(1)
	v_mul_f64 v[30:31], v[40:41], v[26:27]
	v_fmac_f64_e32 v[30:31], v[38:39], v[24:25]
	v_mul_f64 v[24:25], v[40:41], v[24:25]
	v_fma_f64 v[38:39], v[38:39], v[26:27], -v[24:25]
	v_accvgpr_read_b32 v24, a48
	v_accvgpr_read_b32 v26, a50
	;; [unrolled: 1-line block ×4, first 2 shown]
	s_waitcnt lgkmcnt(0)
	v_mul_f64 v[40:41], v[26:27], v[22:23]
	v_fmac_f64_e32 v[40:41], v[24:25], v[20:21]
	v_mul_f64 v[20:21], v[26:27], v[20:21]
	v_fma_f64 v[42:43], v[24:25], v[22:23], -v[20:21]
	v_add_f64 v[20:21], v[16:17], -v[36:37]
	v_add_f64 v[22:23], v[18:19], -v[32:33]
	v_fma_f64 v[16:17], v[16:17], 2.0, -v[20:21]
	v_fma_f64 v[18:19], v[18:19], 2.0, -v[22:23]
	v_add_f64 v[24:25], v[12:13], -v[34:35]
	v_add_f64 v[26:27], v[14:15], -v[28:29]
	;; [unrolled: 1-line block ×6, first 2 shown]
	v_fma_f64 v[12:13], v[12:13], 2.0, -v[24:25]
	v_fma_f64 v[14:15], v[14:15], 2.0, -v[26:27]
	;; [unrolled: 1-line block ×6, first 2 shown]
	s_barrier
	ds_write_b128 v196, v[16:19]
	ds_write_b128 v196, v[20:23] offset:2448
	ds_write_b128 v65, v[12:15]
	ds_write_b128 v65, v[24:27] offset:2448
	ds_write_b128 v196, v[8:11] offset:5712
	ds_write_b128 v196, v[28:31] offset:8160
	ds_write_b128 v159, v[4:7] offset:9792
	ds_write_b128 v159, v[32:35] offset:12240
	s_and_saveexec_b64 s[0:1], s[2:3]
	s_cbranch_execz .LBB0_21
; %bb.20:
	v_mul_f64 v[4:5], v[68:69], v[144:145]
	v_fma_f64 v[4:5], v[66:67], v[146:147], -v[4:5]
	v_add_f64 v[4:5], v[2:3], -v[4:5]
	v_fma_f64 v[8:9], v[2:3], 2.0, -v[4:5]
	v_mul_f64 v[2:3], v[68:69], v[146:147]
	v_fmac_f64_e32 v[2:3], v[66:67], v[144:145]
	v_add_f64 v[2:3], v[0:1], -v[2:3]
	v_fma_f64 v[6:7], v[0:1], 2.0, -v[2:3]
	ds_write_b128 v64, v[6:9] offset:9792
	ds_write_b128 v64, v[2:5] offset:12240
.LBB0_21:
	s_or_b64 exec, exec, s[0:1]
	s_waitcnt lgkmcnt(0)
	s_barrier
	ds_read_b128 v[0:3], v196
	ds_read_b128 v[4:7], v196 offset:1632
	ds_read_b128 v[8:11], v196 offset:9792
	;; [unrolled: 1-line block ×8, first 2 shown]
	s_waitcnt lgkmcnt(4)
	v_mul_f64 v[36:37], v[82:83], v[18:19]
	v_fmac_f64_e32 v[36:37], v[80:81], v[16:17]
	v_mul_f64 v[16:17], v[82:83], v[16:17]
	v_fma_f64 v[16:17], v[80:81], v[18:19], -v[16:17]
	v_mul_f64 v[18:19], v[86:87], v[10:11]
	v_fmac_f64_e32 v[18:19], v[84:85], v[8:9]
	v_mul_f64 v[8:9], v[86:87], v[8:9]
	v_fma_f64 v[38:39], v[84:85], v[10:11], -v[8:9]
	s_waitcnt lgkmcnt(2)
	v_mul_f64 v[8:9], v[90:91], v[24:25]
	v_mul_f64 v[40:41], v[90:91], v[26:27]
	v_fma_f64 v[26:27], v[88:89], v[26:27], -v[8:9]
	v_mul_f64 v[8:9], v[94:95], v[12:13]
	v_fma_f64 v[44:45], v[92:93], v[14:15], -v[8:9]
	s_waitcnt lgkmcnt(1)
	v_mul_f64 v[8:9], v[98:99], v[28:29]
	v_mul_f64 v[42:43], v[94:95], v[14:15]
	v_fma_f64 v[48:49], v[96:97], v[30:31], -v[8:9]
	s_waitcnt lgkmcnt(0)
	v_mul_f64 v[8:9], v[102:103], v[32:33]
	v_add_f64 v[10:11], v[36:37], v[18:19]
	s_mov_b32 s0, 0xe8584caa
	v_fmac_f64_e32 v[40:41], v[88:89], v[24:25]
	v_fmac_f64_e32 v[42:43], v[92:93], v[12:13]
	v_mul_f64 v[50:51], v[102:103], v[34:35]
	v_fma_f64 v[34:35], v[100:101], v[34:35], -v[8:9]
	v_add_f64 v[8:9], v[0:1], v[36:37]
	v_fmac_f64_e32 v[0:1], -0.5, v[10:11]
	v_add_f64 v[10:11], v[16:17], -v[38:39]
	s_mov_b32 s1, 0xbfebb67a
	s_mov_b32 s3, 0x3febb67a
	;; [unrolled: 1-line block ×3, first 2 shown]
	v_add_f64 v[14:15], v[16:17], v[38:39]
	v_add_f64 v[8:9], v[8:9], v[18:19]
	v_fma_f64 v[12:13], s[0:1], v[10:11], v[0:1]
	v_fmac_f64_e32 v[0:1], s[2:3], v[10:11]
	v_add_f64 v[10:11], v[2:3], v[16:17]
	v_fmac_f64_e32 v[2:3], -0.5, v[14:15]
	v_add_f64 v[16:17], v[36:37], -v[18:19]
	v_add_f64 v[18:19], v[40:41], v[42:43]
	v_mul_f64 v[46:47], v[98:99], v[30:31]
	v_fma_f64 v[14:15], s[2:3], v[16:17], v[2:3]
	v_fmac_f64_e32 v[2:3], s[0:1], v[16:17]
	v_add_f64 v[16:17], v[4:5], v[40:41]
	v_fmac_f64_e32 v[4:5], -0.5, v[18:19]
	v_add_f64 v[18:19], v[26:27], -v[44:45]
	v_fmac_f64_e32 v[46:47], v[96:97], v[28:29]
	v_fmac_f64_e32 v[50:51], v[100:101], v[32:33]
	v_fma_f64 v[24:25], s[0:1], v[18:19], v[4:5]
	v_fmac_f64_e32 v[4:5], s[2:3], v[18:19]
	v_add_f64 v[18:19], v[6:7], v[26:27]
	v_add_f64 v[26:27], v[26:27], v[44:45]
	v_fmac_f64_e32 v[6:7], -0.5, v[26:27]
	v_add_f64 v[28:29], v[40:41], -v[42:43]
	v_add_f64 v[30:31], v[46:47], v[50:51]
	v_fma_f64 v[26:27], s[2:3], v[28:29], v[6:7]
	v_fmac_f64_e32 v[6:7], s[0:1], v[28:29]
	v_add_f64 v[28:29], v[20:21], v[46:47]
	v_fmac_f64_e32 v[20:21], -0.5, v[30:31]
	v_add_f64 v[30:31], v[48:49], -v[34:35]
	v_fma_f64 v[32:33], s[0:1], v[30:31], v[20:21]
	v_fmac_f64_e32 v[20:21], s[2:3], v[30:31]
	v_add_f64 v[30:31], v[22:23], v[48:49]
	v_add_f64 v[30:31], v[30:31], v[34:35]
	v_add_f64 v[34:35], v[48:49], v[34:35]
	v_add_f64 v[10:11], v[10:11], v[38:39]
	v_fmac_f64_e32 v[22:23], -0.5, v[34:35]
	v_add_f64 v[36:37], v[46:47], -v[50:51]
	v_add_f64 v[16:17], v[16:17], v[42:43]
	v_add_f64 v[18:19], v[18:19], v[44:45]
	;; [unrolled: 1-line block ×3, first 2 shown]
	v_fma_f64 v[34:35], s[2:3], v[36:37], v[22:23]
	v_fmac_f64_e32 v[22:23], s[0:1], v[36:37]
	ds_write_b128 v196, v[8:11]
	ds_write_b128 v196, v[12:15] offset:4896
	ds_write_b128 v196, v[0:3] offset:9792
	;; [unrolled: 1-line block ×8, first 2 shown]
	s_waitcnt lgkmcnt(0)
	s_barrier
	s_and_b64 exec, exec, s[4:5]
	s_cbranch_execz .LBB0_23
; %bb.22:
	global_load_dwordx4 v[0:3], v196, s[12:13]
	v_accvgpr_read_b32 v26, a2
	v_mad_u64_u32 v[14:15], s[0:1], s10, v26, 0
	ds_read_b128 v[4:7], v196
	ds_read_b128 v[8:11], v196 offset:864
	ds_read_b128 v[18:21], v196 offset:13824
	v_mov_b32_e32 v22, v15
	v_mad_u64_u32 v[16:17], s[2:3], s8, v162, 0
	v_mad_u64_u32 v[22:23], s[2:3], s11, v26, v[22:23]
	v_mov_b32_e32 v12, s14
	v_mov_b32_e32 v13, s15
	;; [unrolled: 1-line block ×4, first 2 shown]
	s_mov_b32 s0, 0x672e4abd
	v_mad_u64_u32 v[24:25], s[2:3], s9, v162, v[24:25]
	v_lshl_add_u64 v[12:13], v[14:15], 4, v[12:13]
	s_mov_b32 s1, 0x3f51d8f5
	v_mov_b32_e32 v17, v24
	v_lshl_add_u64 v[12:13], v[16:17], 4, v[12:13]
	v_mov_b32_e32 v24, 0x360
	s_mul_i32 s2, s9, 0x360
	v_mov_b32_e32 v197, 0
	s_movk_i32 s3, 0x1000
	s_waitcnt vmcnt(0) lgkmcnt(2)
	v_mul_f64 v[14:15], v[6:7], v[2:3]
	v_mul_f64 v[2:3], v[4:5], v[2:3]
	v_fmac_f64_e32 v[14:15], v[4:5], v[0:1]
	v_fma_f64 v[2:3], v[0:1], v[6:7], -v[2:3]
	v_mul_f64 v[0:1], v[14:15], s[0:1]
	v_mul_f64 v[2:3], v[2:3], s[0:1]
	global_store_dwordx4 v[12:13], v[0:3], off
	global_load_dwordx4 v[0:3], v196, s[12:13] offset:864
	v_mad_u64_u32 v[12:13], s[4:5], s8, v24, v[12:13]
	v_add_u32_e32 v13, s2, v13
	s_waitcnt vmcnt(0) lgkmcnt(1)
	v_mul_f64 v[4:5], v[10:11], v[2:3]
	v_mul_f64 v[2:3], v[8:9], v[2:3]
	v_fmac_f64_e32 v[4:5], v[8:9], v[0:1]
	v_fma_f64 v[2:3], v[0:1], v[10:11], -v[2:3]
	v_mul_f64 v[0:1], v[4:5], s[0:1]
	v_mul_f64 v[2:3], v[2:3], s[0:1]
	global_store_dwordx4 v[12:13], v[0:3], off
	global_load_dwordx4 v[0:3], v196, s[12:13] offset:1728
	ds_read_b128 v[4:7], v196 offset:1728
	ds_read_b128 v[8:11], v196 offset:2592
	v_mad_u64_u32 v[12:13], s[4:5], s8, v24, v[12:13]
	v_add_u32_e32 v13, s2, v13
	s_waitcnt vmcnt(0) lgkmcnt(1)
	v_mul_f64 v[14:15], v[6:7], v[2:3]
	v_mul_f64 v[2:3], v[4:5], v[2:3]
	v_fmac_f64_e32 v[14:15], v[4:5], v[0:1]
	v_fma_f64 v[2:3], v[0:1], v[6:7], -v[2:3]
	v_mul_f64 v[0:1], v[14:15], s[0:1]
	v_mul_f64 v[2:3], v[2:3], s[0:1]
	global_store_dwordx4 v[12:13], v[0:3], off
	global_load_dwordx4 v[0:3], v196, s[12:13] offset:2592
	v_mad_u64_u32 v[12:13], s[4:5], s8, v24, v[12:13]
	v_add_u32_e32 v13, s2, v13
	v_lshl_add_u64 v[14:15], s[12:13], 0, v[196:197]
	v_add_co_u32_e32 v16, vcc, s3, v14
	s_movk_i32 s3, 0x2000
	s_nop 0
	v_addc_co_u32_e32 v17, vcc, 0, v15, vcc
	s_waitcnt vmcnt(0) lgkmcnt(0)
	v_mul_f64 v[4:5], v[10:11], v[2:3]
	v_mul_f64 v[2:3], v[8:9], v[2:3]
	v_fmac_f64_e32 v[4:5], v[8:9], v[0:1]
	v_fma_f64 v[2:3], v[0:1], v[10:11], -v[2:3]
	v_mul_f64 v[0:1], v[4:5], s[0:1]
	v_mul_f64 v[2:3], v[2:3], s[0:1]
	global_store_dwordx4 v[12:13], v[0:3], off
	global_load_dwordx4 v[0:3], v196, s[12:13] offset:3456
	ds_read_b128 v[4:7], v196 offset:3456
	ds_read_b128 v[8:11], v196 offset:4320
	v_mad_u64_u32 v[12:13], s[4:5], s8, v24, v[12:13]
	v_add_u32_e32 v13, s2, v13
	s_waitcnt vmcnt(0) lgkmcnt(1)
	v_mul_f64 v[22:23], v[6:7], v[2:3]
	v_mul_f64 v[2:3], v[4:5], v[2:3]
	v_fmac_f64_e32 v[22:23], v[4:5], v[0:1]
	v_fma_f64 v[2:3], v[0:1], v[6:7], -v[2:3]
	v_mul_f64 v[0:1], v[22:23], s[0:1]
	v_mul_f64 v[2:3], v[2:3], s[0:1]
	global_store_dwordx4 v[12:13], v[0:3], off
	global_load_dwordx4 v[0:3], v[16:17], off offset:224
	v_mad_u64_u32 v[12:13], s[4:5], s8, v24, v[12:13]
	v_add_u32_e32 v13, s2, v13
	s_waitcnt vmcnt(0) lgkmcnt(0)
	v_mul_f64 v[4:5], v[10:11], v[2:3]
	v_mul_f64 v[2:3], v[8:9], v[2:3]
	v_fmac_f64_e32 v[4:5], v[8:9], v[0:1]
	v_fma_f64 v[2:3], v[0:1], v[10:11], -v[2:3]
	v_mul_f64 v[0:1], v[4:5], s[0:1]
	v_mul_f64 v[2:3], v[2:3], s[0:1]
	global_store_dwordx4 v[12:13], v[0:3], off
	global_load_dwordx4 v[0:3], v[16:17], off offset:1088
	ds_read_b128 v[4:7], v196 offset:5184
	ds_read_b128 v[8:11], v196 offset:6048
	v_mad_u64_u32 v[12:13], s[4:5], s8, v24, v[12:13]
	v_add_u32_e32 v13, s2, v13
	s_waitcnt vmcnt(0) lgkmcnt(1)
	v_mul_f64 v[22:23], v[6:7], v[2:3]
	v_mul_f64 v[2:3], v[4:5], v[2:3]
	v_fmac_f64_e32 v[22:23], v[4:5], v[0:1]
	v_fma_f64 v[2:3], v[0:1], v[6:7], -v[2:3]
	v_mul_f64 v[0:1], v[22:23], s[0:1]
	v_mul_f64 v[2:3], v[2:3], s[0:1]
	global_store_dwordx4 v[12:13], v[0:3], off
	global_load_dwordx4 v[0:3], v[16:17], off offset:1952
	v_mad_u64_u32 v[12:13], s[4:5], s8, v24, v[12:13]
	v_add_u32_e32 v13, s2, v13
	s_waitcnt vmcnt(0) lgkmcnt(0)
	v_mul_f64 v[4:5], v[10:11], v[2:3]
	v_mul_f64 v[2:3], v[8:9], v[2:3]
	v_fmac_f64_e32 v[4:5], v[8:9], v[0:1]
	v_fma_f64 v[2:3], v[0:1], v[10:11], -v[2:3]
	v_mul_f64 v[0:1], v[4:5], s[0:1]
	v_mul_f64 v[2:3], v[2:3], s[0:1]
	global_store_dwordx4 v[12:13], v[0:3], off
	global_load_dwordx4 v[0:3], v[16:17], off offset:2816
	ds_read_b128 v[4:7], v196 offset:6912
	ds_read_b128 v[8:11], v196 offset:7776
	v_mad_u64_u32 v[12:13], s[4:5], s8, v24, v[12:13]
	v_add_u32_e32 v13, s2, v13
	s_waitcnt vmcnt(0) lgkmcnt(1)
	v_mul_f64 v[22:23], v[6:7], v[2:3]
	v_mul_f64 v[2:3], v[4:5], v[2:3]
	v_fmac_f64_e32 v[22:23], v[4:5], v[0:1]
	v_fma_f64 v[2:3], v[0:1], v[6:7], -v[2:3]
	v_mul_f64 v[0:1], v[22:23], s[0:1]
	v_mul_f64 v[2:3], v[2:3], s[0:1]
	global_store_dwordx4 v[12:13], v[0:3], off
	global_load_dwordx4 v[0:3], v[16:17], off offset:3680
	v_mad_u64_u32 v[12:13], s[4:5], s8, v24, v[12:13]
	v_add_co_u32_e32 v16, vcc, s3, v14
	v_add_u32_e32 v13, s2, v13
	s_nop 0
	v_addc_co_u32_e32 v17, vcc, 0, v15, vcc
	s_movk_i32 s3, 0x3000
	v_add_co_u32_e32 v14, vcc, s3, v14
	s_waitcnt vmcnt(0) lgkmcnt(0)
	v_mul_f64 v[4:5], v[10:11], v[2:3]
	v_mul_f64 v[2:3], v[8:9], v[2:3]
	v_fmac_f64_e32 v[4:5], v[8:9], v[0:1]
	v_fma_f64 v[2:3], v[0:1], v[10:11], -v[2:3]
	v_mul_f64 v[0:1], v[4:5], s[0:1]
	v_mul_f64 v[2:3], v[2:3], s[0:1]
	global_store_dwordx4 v[12:13], v[0:3], off
	global_load_dwordx4 v[0:3], v[16:17], off offset:448
	ds_read_b128 v[4:7], v196 offset:8640
	ds_read_b128 v[8:11], v196 offset:9504
	v_mad_u64_u32 v[12:13], s[4:5], s8, v24, v[12:13]
	v_add_u32_e32 v13, s2, v13
	v_addc_co_u32_e32 v15, vcc, 0, v15, vcc
	s_waitcnt vmcnt(0) lgkmcnt(1)
	v_mul_f64 v[22:23], v[6:7], v[2:3]
	v_mul_f64 v[2:3], v[4:5], v[2:3]
	v_fmac_f64_e32 v[22:23], v[4:5], v[0:1]
	v_fma_f64 v[2:3], v[0:1], v[6:7], -v[2:3]
	v_mul_f64 v[0:1], v[22:23], s[0:1]
	v_mul_f64 v[2:3], v[2:3], s[0:1]
	global_store_dwordx4 v[12:13], v[0:3], off
	global_load_dwordx4 v[0:3], v[16:17], off offset:1312
	v_mad_u64_u32 v[12:13], s[4:5], s8, v24, v[12:13]
	v_add_u32_e32 v13, s2, v13
	s_waitcnt vmcnt(0) lgkmcnt(0)
	v_mul_f64 v[4:5], v[10:11], v[2:3]
	v_mul_f64 v[2:3], v[8:9], v[2:3]
	v_fmac_f64_e32 v[4:5], v[8:9], v[0:1]
	v_fma_f64 v[2:3], v[0:1], v[10:11], -v[2:3]
	v_mul_f64 v[0:1], v[4:5], s[0:1]
	v_mul_f64 v[2:3], v[2:3], s[0:1]
	global_store_dwordx4 v[12:13], v[0:3], off
	global_load_dwordx4 v[0:3], v[16:17], off offset:2176
	ds_read_b128 v[4:7], v196 offset:10368
	ds_read_b128 v[8:11], v196 offset:11232
	v_mad_u64_u32 v[12:13], s[4:5], s8, v24, v[12:13]
	v_add_u32_e32 v13, s2, v13
	s_waitcnt vmcnt(0) lgkmcnt(1)
	v_mul_f64 v[22:23], v[6:7], v[2:3]
	v_mul_f64 v[2:3], v[4:5], v[2:3]
	v_fmac_f64_e32 v[22:23], v[4:5], v[0:1]
	v_fma_f64 v[2:3], v[0:1], v[6:7], -v[2:3]
	v_mul_f64 v[0:1], v[22:23], s[0:1]
	v_mul_f64 v[2:3], v[2:3], s[0:1]
	global_store_dwordx4 v[12:13], v[0:3], off
	global_load_dwordx4 v[0:3], v[16:17], off offset:3040
	v_mad_u64_u32 v[12:13], s[4:5], s8, v24, v[12:13]
	v_add_u32_e32 v13, s2, v13
	s_waitcnt vmcnt(0) lgkmcnt(0)
	v_mul_f64 v[4:5], v[10:11], v[2:3]
	v_mul_f64 v[2:3], v[8:9], v[2:3]
	v_fmac_f64_e32 v[4:5], v[8:9], v[0:1]
	v_fma_f64 v[2:3], v[0:1], v[10:11], -v[2:3]
	v_mul_f64 v[0:1], v[4:5], s[0:1]
	v_mul_f64 v[2:3], v[2:3], s[0:1]
	global_store_dwordx4 v[12:13], v[0:3], off
	global_load_dwordx4 v[0:3], v[16:17], off offset:3904
	ds_read_b128 v[4:7], v196 offset:12096
	ds_read_b128 v[8:11], v196 offset:12960
	v_mad_u64_u32 v[12:13], s[4:5], s8, v24, v[12:13]
	v_add_u32_e32 v13, s2, v13
	s_waitcnt vmcnt(0) lgkmcnt(1)
	v_mul_f64 v[16:17], v[6:7], v[2:3]
	v_mul_f64 v[2:3], v[4:5], v[2:3]
	v_fmac_f64_e32 v[16:17], v[4:5], v[0:1]
	v_fma_f64 v[2:3], v[0:1], v[6:7], -v[2:3]
	v_mul_f64 v[0:1], v[16:17], s[0:1]
	v_mul_f64 v[2:3], v[2:3], s[0:1]
	global_store_dwordx4 v[12:13], v[0:3], off
	global_load_dwordx4 v[0:3], v[14:15], off offset:672
	v_mad_u64_u32 v[4:5], s[4:5], s8, v24, v[12:13]
	v_add_u32_e32 v5, s2, v5
	s_waitcnt vmcnt(0) lgkmcnt(0)
	v_mul_f64 v[6:7], v[10:11], v[2:3]
	v_mul_f64 v[2:3], v[8:9], v[2:3]
	v_fmac_f64_e32 v[6:7], v[8:9], v[0:1]
	v_fma_f64 v[2:3], v[0:1], v[10:11], -v[2:3]
	v_mul_f64 v[0:1], v[6:7], s[0:1]
	v_mul_f64 v[2:3], v[2:3], s[0:1]
	global_store_dwordx4 v[4:5], v[0:3], off
	global_load_dwordx4 v[0:3], v[14:15], off offset:1536
	v_mad_u64_u32 v[4:5], s[4:5], s8, v24, v[4:5]
	v_add_u32_e32 v5, s2, v5
	s_waitcnt vmcnt(0)
	v_mul_f64 v[6:7], v[20:21], v[2:3]
	v_mul_f64 v[2:3], v[18:19], v[2:3]
	v_fmac_f64_e32 v[6:7], v[18:19], v[0:1]
	v_fma_f64 v[2:3], v[0:1], v[20:21], -v[2:3]
	v_mul_f64 v[0:1], v[6:7], s[0:1]
	v_mul_f64 v[2:3], v[2:3], s[0:1]
	global_store_dwordx4 v[4:5], v[0:3], off
.LBB0_23:
	s_endpgm
	.section	.rodata,"a",@progbits
	.p2align	6, 0x0
	.amdhsa_kernel bluestein_single_fwd_len918_dim1_dp_op_CI_CI
		.amdhsa_group_segment_fixed_size 14688
		.amdhsa_private_segment_fixed_size 0
		.amdhsa_kernarg_size 104
		.amdhsa_user_sgpr_count 2
		.amdhsa_user_sgpr_dispatch_ptr 0
		.amdhsa_user_sgpr_queue_ptr 0
		.amdhsa_user_sgpr_kernarg_segment_ptr 1
		.amdhsa_user_sgpr_dispatch_id 0
		.amdhsa_user_sgpr_kernarg_preload_length 0
		.amdhsa_user_sgpr_kernarg_preload_offset 0
		.amdhsa_user_sgpr_private_segment_size 0
		.amdhsa_uses_dynamic_stack 0
		.amdhsa_enable_private_segment 0
		.amdhsa_system_sgpr_workgroup_id_x 1
		.amdhsa_system_sgpr_workgroup_id_y 0
		.amdhsa_system_sgpr_workgroup_id_z 0
		.amdhsa_system_sgpr_workgroup_info 0
		.amdhsa_system_vgpr_workitem_id 0
		.amdhsa_next_free_vgpr 400
		.amdhsa_next_free_sgpr 62
		.amdhsa_accum_offset 256
		.amdhsa_reserve_vcc 1
		.amdhsa_float_round_mode_32 0
		.amdhsa_float_round_mode_16_64 0
		.amdhsa_float_denorm_mode_32 3
		.amdhsa_float_denorm_mode_16_64 3
		.amdhsa_dx10_clamp 1
		.amdhsa_ieee_mode 1
		.amdhsa_fp16_overflow 0
		.amdhsa_tg_split 0
		.amdhsa_exception_fp_ieee_invalid_op 0
		.amdhsa_exception_fp_denorm_src 0
		.amdhsa_exception_fp_ieee_div_zero 0
		.amdhsa_exception_fp_ieee_overflow 0
		.amdhsa_exception_fp_ieee_underflow 0
		.amdhsa_exception_fp_ieee_inexact 0
		.amdhsa_exception_int_div_zero 0
	.end_amdhsa_kernel
	.text
.Lfunc_end0:
	.size	bluestein_single_fwd_len918_dim1_dp_op_CI_CI, .Lfunc_end0-bluestein_single_fwd_len918_dim1_dp_op_CI_CI
                                        ; -- End function
	.section	.AMDGPU.csdata,"",@progbits
; Kernel info:
; codeLenInByte = 26144
; NumSgprs: 68
; NumVgprs: 256
; NumAgprs: 144
; TotalNumVgprs: 400
; ScratchSize: 0
; MemoryBound: 0
; FloatMode: 240
; IeeeMode: 1
; LDSByteSize: 14688 bytes/workgroup (compile time only)
; SGPRBlocks: 8
; VGPRBlocks: 49
; NumSGPRsForWavesPerEU: 68
; NumVGPRsForWavesPerEU: 400
; AccumOffset: 256
; Occupancy: 1
; WaveLimiterHint : 1
; COMPUTE_PGM_RSRC2:SCRATCH_EN: 0
; COMPUTE_PGM_RSRC2:USER_SGPR: 2
; COMPUTE_PGM_RSRC2:TRAP_HANDLER: 0
; COMPUTE_PGM_RSRC2:TGID_X_EN: 1
; COMPUTE_PGM_RSRC2:TGID_Y_EN: 0
; COMPUTE_PGM_RSRC2:TGID_Z_EN: 0
; COMPUTE_PGM_RSRC2:TIDIG_COMP_CNT: 0
; COMPUTE_PGM_RSRC3_GFX90A:ACCUM_OFFSET: 63
; COMPUTE_PGM_RSRC3_GFX90A:TG_SPLIT: 0
	.text
	.p2alignl 6, 3212836864
	.fill 256, 4, 3212836864
	.type	__hip_cuid_48fa441d8ba37df3,@object ; @__hip_cuid_48fa441d8ba37df3
	.section	.bss,"aw",@nobits
	.globl	__hip_cuid_48fa441d8ba37df3
__hip_cuid_48fa441d8ba37df3:
	.byte	0                               ; 0x0
	.size	__hip_cuid_48fa441d8ba37df3, 1

	.ident	"AMD clang version 19.0.0git (https://github.com/RadeonOpenCompute/llvm-project roc-6.4.0 25133 c7fe45cf4b819c5991fe208aaa96edf142730f1d)"
	.section	".note.GNU-stack","",@progbits
	.addrsig
	.addrsig_sym __hip_cuid_48fa441d8ba37df3
	.amdgpu_metadata
---
amdhsa.kernels:
  - .agpr_count:     144
    .args:
      - .actual_access:  read_only
        .address_space:  global
        .offset:         0
        .size:           8
        .value_kind:     global_buffer
      - .actual_access:  read_only
        .address_space:  global
        .offset:         8
        .size:           8
        .value_kind:     global_buffer
      - .actual_access:  read_only
        .address_space:  global
        .offset:         16
        .size:           8
        .value_kind:     global_buffer
      - .actual_access:  read_only
        .address_space:  global
        .offset:         24
        .size:           8
        .value_kind:     global_buffer
      - .actual_access:  read_only
        .address_space:  global
        .offset:         32
        .size:           8
        .value_kind:     global_buffer
      - .offset:         40
        .size:           8
        .value_kind:     by_value
      - .address_space:  global
        .offset:         48
        .size:           8
        .value_kind:     global_buffer
      - .address_space:  global
        .offset:         56
        .size:           8
        .value_kind:     global_buffer
      - .address_space:  global
        .offset:         64
        .size:           8
        .value_kind:     global_buffer
      - .address_space:  global
        .offset:         72
        .size:           8
        .value_kind:     global_buffer
      - .offset:         80
        .size:           4
        .value_kind:     by_value
      - .address_space:  global
        .offset:         88
        .size:           8
        .value_kind:     global_buffer
      - .address_space:  global
        .offset:         96
        .size:           8
        .value_kind:     global_buffer
    .group_segment_fixed_size: 14688
    .kernarg_segment_align: 8
    .kernarg_segment_size: 104
    .language:       OpenCL C
    .language_version:
      - 2
      - 0
    .max_flat_workgroup_size: 102
    .name:           bluestein_single_fwd_len918_dim1_dp_op_CI_CI
    .private_segment_fixed_size: 0
    .sgpr_count:     68
    .sgpr_spill_count: 0
    .symbol:         bluestein_single_fwd_len918_dim1_dp_op_CI_CI.kd
    .uniform_work_group_size: 1
    .uses_dynamic_stack: false
    .vgpr_count:     400
    .vgpr_spill_count: 0
    .wavefront_size: 64
amdhsa.target:   amdgcn-amd-amdhsa--gfx950
amdhsa.version:
  - 1
  - 2
...

	.end_amdgpu_metadata
